;; amdgpu-corpus repo=ROCm/rocFFT kind=compiled arch=gfx1030 opt=O3
	.text
	.amdgcn_target "amdgcn-amd-amdhsa--gfx1030"
	.amdhsa_code_object_version 6
	.protected	bluestein_single_fwd_len119_dim1_half_op_CI_CI ; -- Begin function bluestein_single_fwd_len119_dim1_half_op_CI_CI
	.globl	bluestein_single_fwd_len119_dim1_half_op_CI_CI
	.p2align	8
	.type	bluestein_single_fwd_len119_dim1_half_op_CI_CI,@function
bluestein_single_fwd_len119_dim1_half_op_CI_CI: ; @bluestein_single_fwd_len119_dim1_half_op_CI_CI
; %bb.0:
	s_load_dwordx4 s[0:3], s[4:5], 0x28
	v_mul_u32_u24_e32 v1, 0xf10, v0
	v_lshrrev_b32_e32 v1, 16, v1
	v_mad_u64_u32 v[4:5], null, s6, 15, v[1:2]
	v_mov_b32_e32 v5, 0
	s_waitcnt lgkmcnt(0)
	v_cmp_gt_u64_e32 vcc_lo, s[0:1], v[4:5]
	s_and_saveexec_b32 s0, vcc_lo
	s_cbranch_execz .LBB0_15
; %bb.1:
	v_mul_hi_u32 v2, 0x88888889, v4
	v_mul_lo_u16 v1, v1, 17
	s_clause 0x1
	s_load_dwordx2 s[12:13], s[4:5], 0x0
	s_load_dwordx2 s[14:15], s[4:5], 0x38
	v_sub_nc_u16 v0, v0, v1
	v_lshrrev_b32_e32 v2, 3, v2
	v_and_b32_e32 v26, 0xffff, v0
	v_cmp_gt_u16_e32 vcc_lo, 7, v0
	v_mul_lo_u32 v2, v2, 15
	v_lshlrev_b32_e32 v24, 2, v26
	v_or_b32_e32 v25, 56, v26
	v_or_b32_e32 v23, 0x70, v26
	v_sub_nc_u32_e32 v1, v4, v2
	v_mul_u32_u24_e32 v41, 0x77, v1
	v_lshlrev_b32_e32 v27, 2, v41
	s_and_saveexec_b32 s1, vcc_lo
	s_cbranch_execz .LBB0_3
; %bb.2:
	s_load_dwordx2 s[6:7], s[4:5], 0x18
	v_lshl_add_u32 v40, v26, 2, v27
	v_add_nc_u32_e32 v42, v27, v24
	s_waitcnt lgkmcnt(0)
	s_load_dwordx4 s[8:11], s[6:7], 0x0
	s_clause 0x4
	global_load_dword v14, v24, s[12:13]
	global_load_dword v15, v24, s[12:13] offset:28
	global_load_dword v16, v24, s[12:13] offset:224
	global_load_dword v17, v24, s[12:13] offset:448
	global_load_dword v19, v24, s[12:13] offset:56
	s_waitcnt lgkmcnt(0)
	v_mad_u64_u32 v[0:1], null, s10, v4, 0
	v_mad_u64_u32 v[2:3], null, s8, v26, 0
	;; [unrolled: 1-line block ×4, first 2 shown]
	s_mul_i32 s0, s9, 28
	s_mul_hi_u32 s6, s8, 28
	v_mad_u64_u32 v[9:10], null, s11, v4, v[1:2]
	v_mad_u64_u32 v[10:11], null, s9, v26, v[3:4]
	;; [unrolled: 1-line block ×3, first 2 shown]
	s_add_i32 s6, s6, s0
	s_mul_i32 s7, s8, 28
	v_mov_b32_e32 v1, v9
	v_mad_u64_u32 v[12:13], null, s9, v23, v[8:9]
	v_mov_b32_e32 v3, v10
	v_mov_b32_e32 v6, v11
	v_lshlrev_b64 v[0:1], 2, v[0:1]
	v_lshlrev_b64 v[2:3], 2, v[2:3]
	v_mov_b32_e32 v8, v12
	v_lshlrev_b64 v[5:6], 2, v[5:6]
	v_add_co_u32 v9, s0, s2, v0
	v_add_co_ci_u32_e64 v10, s0, s3, v1, s0
	v_lshlrev_b64 v[0:1], 2, v[7:8]
	v_add_co_u32 v2, s0, v9, v2
	v_add_co_ci_u32_e64 v3, s0, v10, v3, s0
	v_add_co_u32 v5, s0, v9, v5
	v_add_co_ci_u32_e64 v6, s0, v10, v6, s0
	;; [unrolled: 2-line block ×4, first 2 shown]
	s_clause 0x2
	global_load_dword v11, v[2:3], off
	global_load_dword v12, v[5:6], off
	;; [unrolled: 1-line block ×3, first 2 shown]
	v_add_co_u32 v2, s0, v7, s7
	v_add_co_ci_u32_e64 v3, s0, s6, v8, s0
	global_load_dword v18, v[7:8], off
	v_add_co_u32 v5, s0, v2, s7
	global_load_dword v20, v[2:3], off
	v_add_co_ci_u32_e64 v6, s0, s6, v3, s0
	v_add_co_u32 v0, s0, v5, s7
	global_load_dword v21, v24, s[12:13] offset:84
	global_load_dword v22, v[5:6], off
	v_add_co_ci_u32_e64 v1, s0, s6, v6, s0
	v_add_co_u32 v7, s0, v0, s7
	global_load_dword v28, v[0:1], off
	global_load_dword v29, v24, s[12:13] offset:112
	v_add_co_ci_u32_e64 v8, s0, s6, v1, s0
	v_add_co_u32 v9, s0, v7, s7
	v_add_co_ci_u32_e64 v10, s0, s6, v8, s0
	v_add_co_u32 v2, s0, v9, s7
	global_load_dword v7, v[7:8], off
	v_add_co_ci_u32_e64 v3, s0, s6, v10, s0
	global_load_dword v8, v24, s[12:13] offset:140
	global_load_dword v9, v[9:10], off
	global_load_dword v10, v24, s[12:13] offset:168
	v_mad_u64_u32 v[5:6], null, s8, 56, v[2:3]
	v_mov_b32_e32 v0, v6
	v_mad_u64_u32 v[0:1], null, s9, 56, v[0:1]
	v_mov_b32_e32 v6, v0
	v_add_co_u32 v0, s0, v5, s7
	global_load_dword v30, v24, s[12:13] offset:196
	global_load_dword v31, v[2:3], off
	global_load_dword v32, v[5:6], off
	v_add_co_ci_u32_e64 v1, s0, s6, v6, s0
	v_add_co_u32 v2, s0, v0, s7
	s_clause 0x3
	global_load_dword v5, v24, s[12:13] offset:252
	global_load_dword v6, v24, s[12:13] offset:280
	;; [unrolled: 1-line block ×4, first 2 shown]
	v_add_co_ci_u32_e64 v3, s0, s6, v1, s0
	global_load_dword v35, v[0:1], off
	v_add_co_u32 v0, s0, v2, s7
	v_add_co_ci_u32_e64 v1, s0, s6, v3, s0
	global_load_dword v36, v[2:3], off
	v_add_co_u32 v2, s0, v0, s7
	;; [unrolled: 3-line block ×4, first 2 shown]
	v_add_co_ci_u32_e64 v3, s0, s6, v1, s0
	global_load_dword v39, v24, s[12:13] offset:364
	global_load_dword v0, v[0:1], off
	global_load_dword v1, v[2:3], off
	s_clause 0x1
	global_load_dword v2, v24, s[12:13] offset:392
	global_load_dword v3, v24, s[12:13] offset:420
	s_waitcnt vmcnt(28)
	v_lshrrev_b32_e32 v43, 16, v11
	v_mul_f16_sdwa v44, v14, v11 dst_sel:DWORD dst_unused:UNUSED_PAD src0_sel:WORD_1 src1_sel:DWORD
	s_waitcnt vmcnt(27)
	v_lshrrev_b32_e32 v45, 16, v12
	v_mul_f16_sdwa v46, v16, v12 dst_sel:DWORD dst_unused:UNUSED_PAD src0_sel:WORD_1 src1_sel:DWORD
	;; [unrolled: 3-line block ×3, first 2 shown]
	v_fma_f16 v43, v14, v43, -v44
	s_waitcnt vmcnt(25)
	v_lshrrev_b32_e32 v44, 16, v18
	v_mul_f16_sdwa v50, v15, v18 dst_sel:DWORD dst_unused:UNUSED_PAD src0_sel:WORD_1 src1_sel:DWORD
	v_mul_f16_sdwa v48, v17, v13 dst_sel:DWORD dst_unused:UNUSED_PAD src0_sel:WORD_1 src1_sel:DWORD
	;; [unrolled: 1-line block ×3, first 2 shown]
	v_fma_f16 v45, v16, v45, -v46
	v_mul_f16_sdwa v46, v17, v47 dst_sel:DWORD dst_unused:UNUSED_PAD src0_sel:WORD_1 src1_sel:DWORD
	v_fmac_f16_e32 v49, v14, v11
	v_mul_f16_sdwa v11, v15, v44 dst_sel:DWORD dst_unused:UNUSED_PAD src0_sel:WORD_1 src1_sel:DWORD
	v_fma_f16 v14, v15, v44, -v50
	s_waitcnt vmcnt(24)
	v_lshrrev_b32_e32 v44, 16, v20
	v_fma_f16 v47, v17, v47, -v48
	v_mul_f16_sdwa v48, v19, v20 dst_sel:DWORD dst_unused:UNUSED_PAD src0_sel:WORD_1 src1_sel:DWORD
	v_fmac_f16_e32 v46, v17, v13
	v_fmac_f16_e32 v51, v16, v12
	v_mul_f16_sdwa v13, v19, v44 dst_sel:DWORD dst_unused:UNUSED_PAD src0_sel:WORD_1 src1_sel:DWORD
	v_pack_b32_f16 v12, v49, v43
	v_fmac_f16_e32 v11, v15, v18
	v_fma_f16 v15, v19, v44, -v48
	s_waitcnt vmcnt(22)
	v_lshrrev_b32_e32 v16, 16, v22
	v_fmac_f16_e32 v13, v19, v20
	v_mul_f16_sdwa v17, v21, v22 dst_sel:DWORD dst_unused:UNUSED_PAD src0_sel:WORD_1 src1_sel:DWORD
	ds_write_b32 v40, v12
	v_pack_b32_f16 v11, v11, v14
	v_mul_f16_sdwa v12, v21, v16 dst_sel:DWORD dst_unused:UNUSED_PAD src0_sel:WORD_1 src1_sel:DWORD
	s_waitcnt vmcnt(21)
	v_lshrrev_b32_e32 v14, 16, v28
	v_pack_b32_f16 v13, v13, v15
	s_waitcnt vmcnt(20)
	v_mul_f16_sdwa v19, v29, v28 dst_sel:DWORD dst_unused:UNUSED_PAD src0_sel:WORD_1 src1_sel:DWORD
	v_fma_f16 v16, v21, v16, -v17
	v_fmac_f16_e32 v12, v21, v22
	v_mul_f16_sdwa v15, v29, v14 dst_sel:DWORD dst_unused:UNUSED_PAD src0_sel:WORD_1 src1_sel:DWORD
	s_waitcnt vmcnt(19)
	v_lshrrev_b32_e32 v17, 16, v7
	ds_write2_b32 v42, v11, v13 offset0:7 offset1:14
	s_waitcnt vmcnt(17)
	v_lshrrev_b32_e32 v11, 16, v9
	v_fma_f16 v14, v29, v14, -v19
	v_mul_f16_sdwa v19, v8, v7 dst_sel:DWORD dst_unused:UNUSED_PAD src0_sel:WORD_1 src1_sel:DWORD
	v_pack_b32_f16 v12, v12, v16
	v_mul_f16_sdwa v13, v8, v17 dst_sel:DWORD dst_unused:UNUSED_PAD src0_sel:WORD_1 src1_sel:DWORD
	s_waitcnt vmcnt(16)
	v_mul_f16_sdwa v16, v10, v9 dst_sel:DWORD dst_unused:UNUSED_PAD src0_sel:WORD_1 src1_sel:DWORD
	v_fmac_f16_e32 v15, v29, v28
	v_mul_f16_sdwa v20, v10, v11 dst_sel:DWORD dst_unused:UNUSED_PAD src0_sel:WORD_1 src1_sel:DWORD
	v_fma_f16 v17, v8, v17, -v19
	v_fmac_f16_e32 v13, v8, v7
	v_fma_f16 v7, v10, v11, -v16
	v_pack_b32_f16 v18, v51, v45
	v_fmac_f16_e32 v20, v10, v9
	v_pack_b32_f16 v9, v15, v14
	v_pack_b32_f16 v11, v13, v17
	;; [unrolled: 1-line block ×3, first 2 shown]
	ds_write2_b32 v42, v12, v9 offset0:21 offset1:28
	s_waitcnt vmcnt(14)
	v_lshrrev_b32_e32 v8, 16, v31
	v_mul_f16_sdwa v10, v30, v31 dst_sel:DWORD dst_unused:UNUSED_PAD src0_sel:WORD_1 src1_sel:DWORD
	s_waitcnt vmcnt(13)
	v_lshrrev_b32_e32 v9, 16, v32
	ds_write2_b32 v42, v11, v7 offset0:35 offset1:42
	s_waitcnt vmcnt(12)
	v_mul_f16_sdwa v7, v5, v32 dst_sel:DWORD dst_unused:UNUSED_PAD src0_sel:WORD_1 src1_sel:DWORD
	v_mul_f16_sdwa v13, v30, v8 dst_sel:DWORD dst_unused:UNUSED_PAD src0_sel:WORD_1 src1_sel:DWORD
	v_fma_f16 v8, v30, v8, -v10
	v_mul_f16_sdwa v10, v5, v9 dst_sel:DWORD dst_unused:UNUSED_PAD src0_sel:WORD_1 src1_sel:DWORD
	v_fma_f16 v7, v5, v9, -v7
	s_waitcnt vmcnt(8)
	v_lshrrev_b32_e32 v11, 16, v35
	v_mul_f16_sdwa v12, v6, v35 dst_sel:DWORD dst_unused:UNUSED_PAD src0_sel:WORD_1 src1_sel:DWORD
	v_fmac_f16_e32 v10, v5, v32
	v_fmac_f16_e32 v13, v30, v31
	v_mul_f16_sdwa v5, v6, v11 dst_sel:DWORD dst_unused:UNUSED_PAD src0_sel:WORD_1 src1_sel:DWORD
	v_fma_f16 v9, v6, v11, -v12
	s_waitcnt vmcnt(7)
	v_lshrrev_b32_e32 v11, 16, v36
	v_mul_f16_sdwa v12, v33, v36 dst_sel:DWORD dst_unused:UNUSED_PAD src0_sel:WORD_1 src1_sel:DWORD
	v_pack_b32_f16 v7, v10, v7
	v_fmac_f16_e32 v5, v6, v35
	s_waitcnt vmcnt(6)
	v_lshrrev_b32_e32 v6, 16, v37
	v_mul_f16_sdwa v10, v33, v11 dst_sel:DWORD dst_unused:UNUSED_PAD src0_sel:WORD_1 src1_sel:DWORD
	v_fma_f16 v11, v33, v11, -v12
	v_mul_f16_sdwa v12, v34, v37 dst_sel:DWORD dst_unused:UNUSED_PAD src0_sel:WORD_1 src1_sel:DWORD
	v_pack_b32_f16 v8, v13, v8
	v_pack_b32_f16 v5, v5, v9
	v_mul_f16_sdwa v9, v34, v6 dst_sel:DWORD dst_unused:UNUSED_PAD src0_sel:WORD_1 src1_sel:DWORD
	s_waitcnt vmcnt(5)
	v_lshrrev_b32_e32 v13, 16, v38
	v_fma_f16 v6, v34, v6, -v12
	s_waitcnt vmcnt(4)
	v_mul_f16_sdwa v12, v39, v38 dst_sel:DWORD dst_unused:UNUSED_PAD src0_sel:WORD_1 src1_sel:DWORD
	s_waitcnt vmcnt(3)
	v_lshrrev_b32_e32 v14, 16, v0
	s_waitcnt vmcnt(2)
	v_lshrrev_b32_e32 v16, 16, v1
	v_mul_f16_sdwa v15, v39, v13 dst_sel:DWORD dst_unused:UNUSED_PAD src0_sel:WORD_1 src1_sel:DWORD
	s_waitcnt vmcnt(0)
	v_mul_f16_sdwa v19, v3, v1 dst_sel:DWORD dst_unused:UNUSED_PAD src0_sel:WORD_1 src1_sel:DWORD
	v_fma_f16 v12, v39, v13, -v12
	v_mul_f16_sdwa v13, v2, v0 dst_sel:DWORD dst_unused:UNUSED_PAD src0_sel:WORD_1 src1_sel:DWORD
	v_mul_f16_sdwa v17, v2, v14 dst_sel:DWORD dst_unused:UNUSED_PAD src0_sel:WORD_1 src1_sel:DWORD
	;; [unrolled: 1-line block ×3, first 2 shown]
	v_fmac_f16_e32 v10, v33, v36
	v_fmac_f16_e32 v9, v34, v37
	;; [unrolled: 1-line block ×3, first 2 shown]
	v_fma_f16 v13, v2, v14, -v13
	v_fmac_f16_e32 v17, v2, v0
	v_fma_f16 v0, v3, v16, -v19
	v_fmac_f16_e32 v20, v3, v1
	v_pack_b32_f16 v1, v10, v11
	v_pack_b32_f16 v2, v9, v6
	;; [unrolled: 1-line block ×6, first 2 shown]
	ds_write2_b32 v42, v8, v18 offset0:49 offset1:56
	ds_write2_b32 v42, v7, v5 offset0:63 offset1:70
	;; [unrolled: 1-line block ×5, first 2 shown]
.LBB0_3:
	s_or_b32 exec_lo, exec_lo, s1
	s_clause 0x1
	s_load_dwordx2 s[2:3], s[4:5], 0x20
	s_load_dwordx2 s[0:1], s[4:5], 0x8
	s_waitcnt lgkmcnt(0)
	s_barrier
	buffer_gl0_inv
                                        ; implicit-def: $vgpr43
                                        ; implicit-def: $vgpr2
                                        ; implicit-def: $vgpr47
                                        ; implicit-def: $vgpr11
                                        ; implicit-def: $vgpr49
                                        ; implicit-def: $vgpr50
                                        ; implicit-def: $vgpr16
                                        ; implicit-def: $vgpr0
                                        ; implicit-def: $vgpr48
                                        ; implicit-def: $vgpr13
                                        ; implicit-def: $vgpr46
                                        ; implicit-def: $vgpr45
                                        ; implicit-def: $vgpr42
                                        ; implicit-def: $vgpr44
                                        ; implicit-def: $vgpr51
                                        ; implicit-def: $vgpr18
                                        ; implicit-def: $vgpr52
                                        ; implicit-def: $vgpr53
                                        ; implicit-def: $vgpr20
                                        ; implicit-def: $vgpr54
                                        ; implicit-def: $vgpr55
                                        ; implicit-def: $vgpr22
                                        ; implicit-def: $vgpr56
                                        ; implicit-def: $vgpr57
                                        ; implicit-def: $vgpr58
	s_and_saveexec_b32 s4, vcc_lo
	s_cbranch_execz .LBB0_5
; %bb.4:
	v_lshl_add_u32 v5, v41, 2, v24
	ds_read2_b32 v[0:1], v5 offset1:7
	ds_read2_b32 v[21:22], v5 offset0:14 offset1:21
	ds_read2_b32 v[19:20], v5 offset0:28 offset1:35
	;; [unrolled: 1-line block ×7, first 2 shown]
	ds_read_b32 v42, v5 offset:448
	s_waitcnt lgkmcnt(8)
	v_lshrrev_b32_e32 v58, 16, v1
	s_waitcnt lgkmcnt(7)
	v_lshrrev_b32_e32 v57, 16, v21
	v_lshrrev_b32_e32 v56, 16, v22
	s_waitcnt lgkmcnt(6)
	v_lshrrev_b32_e32 v55, 16, v19
	v_lshrrev_b32_e32 v54, 16, v20
	s_waitcnt lgkmcnt(5)
	v_lshrrev_b32_e32 v53, 16, v17
	v_lshrrev_b32_e32 v52, 16, v18
	s_waitcnt lgkmcnt(4)
	v_lshrrev_b32_e32 v51, 16, v15
	v_lshrrev_b32_e32 v50, 16, v16
	s_waitcnt lgkmcnt(3)
	v_lshrrev_b32_e32 v49, 16, v10
	v_lshrrev_b32_e32 v47, 16, v11
	s_waitcnt lgkmcnt(2)
	v_lshrrev_b32_e32 v43, 16, v2
	v_lshrrev_b32_e32 v48, 16, v3
	s_waitcnt lgkmcnt(1)
	v_lshrrev_b32_e32 v46, 16, v13
	v_lshrrev_b32_e32 v45, 16, v14
	s_waitcnt lgkmcnt(0)
	v_lshrrev_b32_e32 v44, 16, v42
.LBB0_5:
	s_or_b32 exec_lo, exec_lo, s4
	v_sub_f16_e32 v9, v58, v44
	v_sub_f16_e32 v12, v57, v45
	v_add_f16_e32 v69, v42, v1
	v_add_f16_e32 v67, v14, v21
	v_sub_f16_e32 v28, v56, v46
	v_mul_f16_e32 v59, 0xb964, v9
	v_mul_f16_e32 v61, 0xbb29, v9
	;; [unrolled: 1-line block ×4, first 2 shown]
	v_sub_f16_e32 v29, v55, v48
	v_fmamk_f16 v5, v69, 0x39e9, v59
	v_fmamk_f16 v6, v69, 0x3722, v61
	;; [unrolled: 1-line block ×3, first 2 shown]
	v_add_f16_e32 v71, v13, v22
	v_mul_f16_e32 v62, 0xba62, v28
	v_mul_f16_e32 v65, 0x31e1, v28
	v_fmamk_f16 v8, v67, 0xb8d2, v64
	v_add_f16_e32 v5, v5, v0
	v_add_f16_e32 v6, v6, v0
	;; [unrolled: 1-line block ×3, first 2 shown]
	v_mul_f16_e32 v63, 0xb1e1, v29
	v_fmamk_f16 v31, v71, 0xb8d2, v62
	v_fmamk_f16 v32, v71, 0xbbdd, v65
	v_sub_f16_e32 v30, v54, v43
	v_add_f16_e32 v5, v7, v5
	v_mul_f16_e32 v74, 0x3bb2, v29
	v_add_f16_e32 v6, v8, v6
	v_fmamk_f16 v33, v68, 0xbbdd, v63
	v_add_f16_e32 v80, v2, v20
	v_mul_f16_e32 v66, 0x3836, v30
	v_add_f16_e32 v5, v31, v5
	v_fmamk_f16 v7, v68, 0xb461, v74
	v_mul_f16_e32 v73, 0x3964, v30
	v_add_f16_e32 v6, v32, v6
	v_sub_f16_e32 v31, v53, v47
	v_fmamk_f16 v8, v80, 0xbacd, v66
	v_add_f16_e32 v5, v33, v5
	v_fmamk_f16 v33, v80, 0x39e9, v73
	v_add_f16_e32 v81, v11, v17
	v_mul_f16_e32 v70, 0x3bb2, v31
	v_add_f16_e32 v6, v7, v6
	v_sub_f16_e32 v32, v52, v49
	v_mul_f16_e32 v76, 0xb5c8, v31
	v_add_f16_e32 v5, v8, v5
	v_fmamk_f16 v7, v81, 0xb461, v70
	v_add_f16_e32 v83, v10, v18
	v_mul_f16_e32 v72, 0x3b29, v32
	v_add_f16_e32 v6, v33, v6
	v_fmamk_f16 v8, v81, 0x3b76, v76
	v_mul_f16_e32 v77, 0xbbf7, v32
	v_add_f16_e32 v5, v7, v5
	v_fmamk_f16 v7, v83, 0x3722, v72
	;; [unrolled: 3-line block ×3, first 2 shown]
	v_sub_f16_e32 v35, v51, v50
	v_add_f16_e32 v5, v7, v5
	v_mul_f16_e32 v106, 0x3bb2, v12
	v_mul_f16_e32 v33, 0x3b29, v12
	v_add_f16_e32 v7, v8, v6
	v_mul_f16_e32 v6, 0xb836, v9
	v_fmamk_f16 v8, v69, 0xb8d2, v105
	v_add_f16_e32 v85, v16, v15
	v_mul_f16_e32 v75, 0x35c8, v35
	v_fmamk_f16 v36, v67, 0xb461, v106
	v_fma_f16 v34, v69, 0xbacd, -v6
	v_fmac_f16_e32 v6, 0xbacd, v69
	v_add_f16_e32 v8, v8, v0
	v_fma_f16 v37, v67, 0x3722, -v33
	v_fmac_f16_e32 v33, 0x3722, v67
	v_mul_f16_e32 v107, 0xb5c8, v28
	v_add_f16_e32 v6, v6, v0
	v_mul_f16_e32 v38, 0xbbf7, v28
	v_fmamk_f16 v39, v85, 0x3b76, v75
	v_add_f16_e32 v8, v36, v8
	v_fmamk_f16 v36, v71, 0x3b76, v107
	v_add_f16_e32 v33, v33, v6
	v_fma_f16 v40, v71, 0x2de8, -v38
	v_fmac_f16_e32 v38, 0x2de8, v71
	v_mul_f16_e32 v109, 0xb836, v29
	v_mul_f16_e32 v78, 0x3a62, v29
	v_add_f16_e32 v6, v39, v5
	v_add_f16_e32 v5, v36, v8
	;; [unrolled: 1-line block ×3, first 2 shown]
	v_fmamk_f16 v33, v68, 0xbacd, v109
	v_fma_f16 v36, v68, 0xb8d2, -v78
	v_fmac_f16_e32 v78, 0xb8d2, v68
	v_mul_f16_e32 v103, 0x3bf7, v30
	v_mul_f16_e32 v38, 0xb5c8, v30
	;; [unrolled: 1-line block ×3, first 2 shown]
	v_add_f16_e32 v5, v33, v5
	v_add_f16_e32 v8, v78, v8
	v_fmamk_f16 v33, v80, 0x2de8, v103
	v_fma_f16 v39, v80, 0x3b76, -v38
	v_fmac_f16_e32 v38, 0x3b76, v80
	v_mul_f16_e32 v104, 0xb964, v31
	v_mul_f16_e32 v78, 0xb1e1, v31
	v_fmamk_f16 v79, v85, 0xbacd, v82
	v_add_f16_e32 v33, v33, v5
	v_add_f16_e32 v8, v38, v8
	v_fmamk_f16 v38, v81, 0x39e9, v104
	v_fma_f16 v98, v81, 0xbbdd, -v78
	v_fmac_f16_e32 v78, 0xbbdd, v81
	v_mul_f16_e32 v102, 0xb1e1, v32
	v_mul_f16_e32 v84, 0x3964, v32
	v_add_f16_e32 v5, v79, v7
	v_add_f16_e32 v7, v38, v33
	;; [unrolled: 1-line block ×3, first 2 shown]
	v_fmamk_f16 v33, v83, 0xbbdd, v102
	v_fma_f16 v38, v83, 0x39e9, -v84
	v_fmac_f16_e32 v84, 0x39e9, v83
	v_mul_f16_e32 v86, 0xbbb2, v35
	v_mul_f16_e32 v99, 0x3b29, v35
	;; [unrolled: 1-line block ×3, first 2 shown]
	v_add_f16_e32 v7, v33, v7
	v_add_f16_e32 v33, v84, v8
	v_fma_f16 v171, v85, 0xb461, -v86
	v_fmamk_f16 v8, v85, 0x3722, v99
	v_fmamk_f16 v84, v69, 0x3b76, v78
	v_mul_f16_e32 v79, 0xb964, v12
	v_fmac_f16_e32 v86, 0xb461, v85
	v_sub_f16_e32 v113, v1, v42
	v_add_f16_e32 v8, v8, v7
	v_add_f16_e32 v84, v84, v0
	v_fmamk_f16 v88, v67, 0x39e9, v79
	v_add_f16_e32 v122, v44, v58
	v_mul_f16_e32 v87, 0xb964, v113
	v_add_f16_e32 v7, v86, v33
	v_sub_f16_e32 v33, v21, v14
	v_mul_f16_e32 v90, 0xbb29, v113
	v_add_f16_e32 v88, v88, v84
	v_fma_f16 v84, v122, 0x39e9, -v87
	v_add_f16_e32 v117, v45, v57
	v_mul_f16_e32 v86, 0xbbf7, v33
	v_mul_f16_e32 v95, 0xbbf7, v113
	v_fma_f16 v89, v122, 0x3722, -v90
	v_mul_f16_e32 v91, 0xba62, v33
	v_add_f16_sdwa v84, v84, v0 dst_sel:DWORD dst_unused:UNUSED_PAD src0_sel:DWORD src1_sel:WORD_1
	v_fma_f16 v92, v117, 0x2de8, -v86
	v_fma_f16 v94, v122, 0x2de8, -v95
	v_mul_f16_e32 v137, 0xbbb2, v113
	v_mul_f16_e32 v152, 0xba62, v113
	v_add_f16_sdwa v89, v89, v0 dst_sel:DWORD dst_unused:UNUSED_PAD src0_sel:DWORD src1_sel:WORD_1
	v_fma_f16 v93, v117, 0xb8d2, -v91
	v_mul_f16_e32 v112, 0xbbb2, v9
	v_add_f16_e32 v100, v92, v84
	v_mul_f16_e32 v96, 0xb1e1, v33
	v_add_f16_sdwa v92, v94, v0 dst_sel:DWORD dst_unused:UNUSED_PAD src0_sel:DWORD src1_sel:WORD_1
	v_fma_f16 v94, v122, 0xb461, -v137
	v_mul_f16_e32 v140, 0x3836, v33
	v_fma_f16 v97, v122, 0xb8d2, -v152
	v_mul_f16_e32 v150, 0x3bb2, v33
	v_add_f16_e32 v89, v93, v89
	v_fmamk_f16 v84, v69, 0xb461, v112
	v_fma_f16 v93, v117, 0xbbdd, -v96
	v_mul_f16_e32 v118, 0x3836, v12
	v_add_f16_sdwa v94, v94, v0 dst_sel:DWORD dst_unused:UNUSED_PAD src0_sel:DWORD src1_sel:WORD_1
	v_fma_f16 v108, v117, 0xbacd, -v140
	v_add_f16_sdwa v97, v97, v0 dst_sel:DWORD dst_unused:UNUSED_PAD src0_sel:DWORD src1_sel:WORD_1
	v_fma_f16 v110, v117, 0xb461, -v150
	v_mul_f16_e32 v111, 0xb836, v113
	v_add_f16_e32 v84, v84, v0
	v_fmamk_f16 v101, v67, 0xbacd, v118
	v_add_f16_e32 v93, v93, v92
	v_add_f16_e32 v94, v108, v94
	;; [unrolled: 1-line block ×3, first 2 shown]
	v_mul_f16_e32 v92, 0x3b29, v33
	v_fma_f16 v97, v122, 0xbacd, -v111
	v_add_f16_e32 v101, v101, v84
	v_fmamk_f16 v84, v122, 0xbacd, v111
	v_add_f16_e32 v34, v34, v0
	v_mul_f16_e32 v110, 0xb1e1, v113
	v_fmamk_f16 v111, v117, 0x3722, v92
	v_fma_f16 v92, v117, 0x3722, -v92
	v_add_f16_sdwa v97, v97, v0 dst_sel:DWORD dst_unused:UNUSED_PAD src0_sel:DWORD src1_sel:WORD_1
	v_add_f16_sdwa v84, v84, v0 dst_sel:DWORD dst_unused:UNUSED_PAD src0_sel:DWORD src1_sel:WORD_1
	v_fmamk_f16 v114, v122, 0xbbdd, v110
	v_add_f16_e32 v34, v37, v34
	v_mul_f16_e32 v37, 0x35c8, v33
	v_add_f16_e32 v116, v92, v97
	v_sub_f16_e32 v119, v22, v13
	v_fma_f16 v97, v122, 0xbbdd, -v110
	v_add_f16_e32 v115, v111, v84
	v_add_f16_sdwa v111, v114, v0 dst_sel:DWORD dst_unused:UNUSED_PAD src0_sel:DWORD src1_sel:WORD_1
	v_fmamk_f16 v114, v117, 0x3b76, v37
	v_mul_f16_e32 v84, 0xbb29, v28
	v_add_f16_e32 v136, v46, v56
	v_mul_f16_e32 v92, 0xba62, v119
	v_fma_f16 v37, v117, 0x3b76, -v37
	v_add_f16_sdwa v110, v97, v0 dst_sel:DWORD dst_unused:UNUSED_PAD src0_sel:DWORD src1_sel:WORD_1
	v_mul_f16_e32 v97, 0x31e1, v119
	v_fmamk_f16 v120, v71, 0x3722, v84
	v_fma_f16 v121, v136, 0xb8d2, -v92
	v_add_f16_e32 v114, v114, v111
	v_add_f16_e32 v37, v37, v110
	v_fma_f16 v110, v136, 0xbbdd, -v97
	v_mul_f16_e32 v111, 0x3bb2, v119
	v_mul_f16_e32 v138, 0x3964, v28
	;; [unrolled: 1-line block ×4, first 2 shown]
	v_add_f16_e32 v120, v120, v88
	v_add_f16_e32 v100, v121, v100
	;; [unrolled: 1-line block ×3, first 2 shown]
	v_fma_f16 v88, v136, 0xb461, -v111
	v_fmamk_f16 v110, v71, 0x39e9, v138
	v_mul_f16_e32 v121, 0xbbf7, v119
	v_fma_f16 v123, v136, 0x39e9, -v146
	v_fma_f16 v124, v136, 0x3b76, -v163
	v_add_f16_e32 v93, v88, v93
	v_add_f16_e32 v101, v110, v101
	v_fmamk_f16 v88, v136, 0x2de8, v121
	v_add_f16_e32 v110, v123, v94
	v_add_f16_e32 v123, v124, v108
	v_fma_f16 v94, v136, 0x2de8, -v121
	v_sub_f16_e32 v121, v19, v3
	v_mul_f16_e32 v108, 0xb836, v119
	v_add_f16_e32 v34, v40, v34
	v_add_f16_e32 v40, v88, v115
	;; [unrolled: 1-line block ×3, first 2 shown]
	v_mul_f16_e32 v88, 0xbbf7, v29
	v_add_f16_e32 v141, v48, v55
	v_fmamk_f16 v116, v136, 0xbacd, v108
	v_fma_f16 v124, v136, 0xbacd, -v108
	v_mul_f16_e32 v108, 0x3bb2, v121
	v_fmamk_f16 v125, v68, 0x2de8, v88
	v_mul_f16_e32 v127, 0x35c8, v121
	v_add_f16_e32 v114, v116, v114
	v_mul_f16_e32 v143, 0xbb29, v29
	v_fma_f16 v116, v141, 0xb461, -v108
	v_add_f16_e32 v120, v125, v120
	v_mul_f16_e32 v125, 0x3a62, v121
	v_mul_f16_e32 v94, 0xb1e1, v121
	v_add_f16_e32 v37, v124, v37
	v_add_f16_e32 v116, v116, v89
	v_fma_f16 v89, v141, 0x3b76, -v127
	v_fmamk_f16 v124, v68, 0x3722, v143
	v_fma_f16 v126, v141, 0xbbdd, -v94
	v_mul_f16_e32 v153, 0xbb29, v121
	v_add_f16_e32 v34, v36, v34
	v_add_f16_e32 v93, v89, v93
	v_fmamk_f16 v89, v141, 0xb8d2, v125
	v_add_f16_e32 v129, v124, v101
	v_fma_f16 v101, v141, 0xb8d2, -v125
	v_add_f16_e32 v100, v126, v100
	v_mul_f16_e32 v177, 0xb836, v121
	v_add_f16_e32 v36, v89, v40
	v_sub_f16_e32 v40, v20, v2
	v_fma_f16 v126, v141, 0x3722, -v153
	v_mul_f16_e32 v124, 0x3964, v121
	v_add_f16_e32 v115, v101, v115
	v_add_f16_e32 v145, v43, v54
	v_mul_f16_e32 v101, 0x3836, v40
	v_fma_f16 v128, v141, 0xbacd, -v177
	v_add_f16_e32 v110, v126, v110
	v_mul_f16_e32 v89, 0xbbb2, v30
	v_fma_f16 v126, v141, 0x39e9, -v124
	v_fma_f16 v130, v145, 0xbacd, -v101
	v_mul_f16_e32 v133, 0xbb29, v40
	v_add_f16_e32 v123, v128, v123
	v_fmamk_f16 v125, v141, 0x39e9, v124
	v_fmamk_f16 v128, v80, 0xb461, v89
	v_mul_f16_e32 v124, 0x3964, v40
	v_add_f16_e32 v37, v126, v37
	v_add_f16_e32 v126, v130, v100
	v_mul_f16_e32 v160, 0xb1e1, v40
	v_fma_f16 v100, v145, 0x3722, -v133
	v_mul_f16_e32 v130, 0xb5c8, v40
	v_add_f16_e32 v114, v125, v114
	v_add_f16_e32 v120, v128, v120
	v_fma_f16 v125, v145, 0x39e9, -v124
	v_mul_f16_e32 v151, 0xb1e1, v30
	v_fma_f16 v128, v145, 0xbbdd, -v160
	v_add_f16_e32 v132, v100, v93
	v_fmamk_f16 v93, v145, 0x3b76, v130
	v_add_f16_e32 v116, v125, v116
	v_fmamk_f16 v125, v80, 0xbbdd, v151
	v_add_f16_e32 v110, v128, v110
	v_add_f16_e32 v34, v39, v34
	v_mul_f16_e32 v39, 0xba62, v40
	v_add_f16_e32 v36, v93, v36
	v_sub_f16_e32 v128, v17, v11
	v_mul_f16_e32 v93, 0xba62, v31
	v_add_f16_e32 v125, v125, v129
	v_fma_f16 v100, v145, 0x3b76, -v130
	v_fmamk_f16 v129, v145, 0xb8d2, v39
	v_add_f16_e32 v149, v47, v53
	v_fma_f16 v39, v145, 0xb8d2, -v39
	v_fmamk_f16 v130, v81, 0xb8d2, v93
	v_mul_f16_e32 v139, 0xb5c8, v128
	v_mul_f16_e32 v180, 0x3bf7, v40
	v_add_f16_e32 v115, v100, v115
	v_mul_f16_e32 v100, 0x3bb2, v128
	v_add_f16_e32 v37, v39, v37
	v_add_f16_e32 v39, v130, v120
	v_fma_f16 v120, v149, 0x3b76, -v139
	v_mul_f16_e32 v142, 0xb836, v128
	v_fma_f16 v131, v145, 0x2de8, -v180
	v_add_f16_e32 v114, v129, v114
	v_fma_f16 v129, v149, 0xb461, -v100
	v_mul_f16_e32 v156, 0x3bf7, v31
	v_mul_f16_e32 v173, 0x3bf7, v128
	v_add_f16_e32 v116, v120, v116
	v_fma_f16 v120, v149, 0xbacd, -v142
	v_mul_f16_e32 v183, 0xb964, v128
	v_add_f16_e32 v123, v131, v123
	v_add_f16_e32 v126, v129, v126
	v_fmamk_f16 v129, v81, 0x2de8, v156
	v_fma_f16 v130, v149, 0x2de8, -v173
	v_mul_f16_e32 v131, 0xb1e1, v128
	v_add_f16_e32 v120, v120, v132
	v_fma_f16 v132, v149, 0x39e9, -v183
	v_add_f16_e32 v125, v129, v125
	v_add_f16_e32 v129, v130, v110
	v_fmamk_f16 v110, v149, 0xbbdd, v131
	v_fma_f16 v130, v149, 0xbbdd, -v131
	v_add_f16_e32 v123, v132, v123
	v_mul_f16_e32 v131, 0x3b29, v128
	v_sub_f16_e32 v132, v18, v10
	v_add_f16_e32 v34, v98, v34
	v_add_f16_e32 v36, v110, v36
	;; [unrolled: 1-line block ×3, first 2 shown]
	v_fmamk_f16 v115, v149, 0x3722, v131
	v_fma_f16 v131, v149, 0x3722, -v131
	v_mul_f16_e32 v98, 0xb836, v32
	v_add_f16_e32 v154, v49, v52
	v_mul_f16_e32 v110, 0x3b29, v132
	v_mul_f16_e32 v144, 0xbbf7, v132
	v_add_f16_e32 v134, v115, v114
	v_add_f16_e32 v37, v131, v37
	v_fmamk_f16 v114, v83, 0xbacd, v98
	v_fma_f16 v115, v154, 0x3722, -v110
	v_fma_f16 v131, v154, 0x2de8, -v144
	v_mul_f16_e32 v148, 0x3a62, v132
	v_mul_f16_e32 v169, 0xb5c8, v32
	v_add_f16_e32 v39, v114, v39
	v_add_f16_e32 v182, v115, v126
	;; [unrolled: 1-line block ×3, first 2 shown]
	v_fma_f16 v115, v154, 0xb8d2, -v148
	v_fmamk_f16 v116, v83, 0x3b76, v169
	v_mul_f16_e32 v113, 0xb5c8, v113
	v_mul_f16_e32 v114, 0x3b76, v122
	v_pk_mul_f16 v161, 0x2de8bbdd, v69 op_sel_hi:[1,0]
	v_pk_mul_f16 v162, 0xbbf7b1e1, v9 op_sel_hi:[1,0]
	v_add_f16_e32 v9, v115, v120
	v_add_f16_e32 v188, v116, v125
	v_mul_f16_e32 v115, 0xb964, v33
	v_pack_b32_f16 v120, v114, v161
	v_pack_b32_f16 v125, v113, v162
	v_mul_f16_e32 v116, 0x39e9, v117
	v_pk_mul_f16 v155, 0xbbdd3b76, v67 op_sel_hi:[1,0]
	v_pk_mul_f16 v157, 0xb1e135c8, v12 op_sel_hi:[1,0]
	v_mul_f16_e32 v185, 0xb1e1, v132
	v_pk_add_f16 v33, v120, v125 neg_lo:[0,1] neg_hi:[0,1]
	v_mul_f16_e32 v119, 0xbb29, v119
	v_pack_b32_f16 v125, v116, v155
	v_pack_b32_f16 v126, v115, v157
	v_mul_f16_e32 v120, 0x3722, v136
	v_pk_mul_f16 v158, 0xb461bacd, v71 op_sel_hi:[1,0]
	v_pk_mul_f16 v159, 0x3bb2b836, v28 op_sel_hi:[1,0]
	v_fma_f16 v28, v154, 0xbbdd, -v185
	v_pk_add_f16 v125, v125, v126 neg_lo:[0,1] neg_hi:[0,1]
	v_pk_add_f16 v33, v33, v0 op_sel:[0,1] op_sel_hi:[1,0]
	v_pack_b32_f16 v126, v120, v158
	v_pack_b32_f16 v131, v119, v159
	v_mul_f16_e32 v135, 0x3964, v132
	v_mul_f16_e32 v179, 0xb5c8, v132
	v_add_f16_e32 v189, v28, v123
	v_pk_add_f16 v28, v125, v33
	v_pk_add_f16 v33, v126, v131 neg_lo:[0,1] neg_hi:[0,1]
	v_fmamk_f16 v125, v154, 0x39e9, v135
	v_mul_f16_e32 v121, 0xbbf7, v121
	v_mul_f16_e32 v123, 0x2de8, v141
	v_pk_mul_f16 v164, 0x3b7639e9, v68 op_sel_hi:[1,0]
	v_pk_mul_f16 v165, 0x35c83964, v29 op_sel_hi:[1,0]
	v_fma_f16 v12, v154, 0x3b76, -v179
	v_add_f16_e32 v29, v38, v34
	v_add_f16_e32 v36, v125, v36
	v_pk_add_f16 v28, v33, v28
	v_pack_b32_f16 v33, v123, v164
	v_pack_b32_f16 v34, v121, v165
	v_fma_f16 v38, v154, 0x39e9, -v135
	v_mul_f16_e32 v125, 0xbbb2, v40
	v_mul_f16_e32 v126, 0xb461, v145
	v_pk_mul_f16 v166, 0x3722b8d2, v80 op_sel_hi:[1,0]
	v_pk_mul_f16 v167, 0xbb29ba62, v30 op_sel_hi:[1,0]
	v_mul_f16_e32 v30, 0xbbb2, v132
	v_add_f16_e32 v12, v12, v129
	v_pk_add_f16 v33, v33, v34 neg_lo:[0,1] neg_hi:[0,1]
	v_add_f16_e32 v40, v38, v130
	v_pack_b32_f16 v34, v126, v166
	v_pack_b32_f16 v38, v125, v167
	v_fmamk_f16 v130, v154, 0xb461, v30
	v_mul_f16_e32 v128, 0xba62, v128
	v_mul_f16_e32 v129, 0xb8d2, v149
	v_pk_mul_f16 v168, 0xbacd3722, v81 op_sel_hi:[1,0]
	v_pk_mul_f16 v170, 0xb8363b29, v31 op_sel_hi:[1,0]
	v_pk_add_f16 v28, v33, v28
	v_pk_add_f16 v31, v34, v38 neg_lo:[0,1] neg_hi:[0,1]
	v_add_f16_e32 v190, v130, v134
	v_pack_b32_f16 v33, v129, v168
	v_pack_b32_f16 v34, v128, v170
	v_fma_f16 v30, v154, 0xb461, -v30
	v_mul_f16_e32 v130, 0xb836, v132
	v_mul_f16_e32 v132, 0xbacd, v154
	v_pk_mul_f16 v172, 0xb8d2b461, v83 op_sel_hi:[1,0]
	v_pk_mul_f16 v174, 0x3a62bbb2, v32 op_sel_hi:[1,0]
	v_pk_add_f16 v28, v31, v28
	v_pk_add_f16 v31, v33, v34 neg_lo:[0,1] neg_hi:[0,1]
	v_add_f16_e32 v191, v30, v37
	v_pack_b32_f16 v30, v132, v172
	v_pack_b32_f16 v32, v130, v174
	v_mul_f16_e32 v131, 0xb1e1, v35
	v_add_f16_e32 v181, v50, v51
	v_sub_f16_e32 v37, v15, v16
	v_pk_add_f16 v31, v31, v28
	v_pk_add_f16 v30, v30, v32 neg_lo:[0,1] neg_hi:[0,1]
	v_fmamk_f16 v28, v85, 0xbbdd, v131
	v_mul_f16_e32 v134, 0xbbdd, v181
	v_pk_mul_f16 v175, 0x39e92de8, v85 op_sel_hi:[1,0]
	v_mul_f16_e32 v135, 0xb1e1, v37
	v_pk_mul_f16 v176, 0x39643bf7, v35 op_sel_hi:[1,0]
	v_pk_fma_f16 v32, 0x2de8bbdd, v69, v162 op_sel_hi:[1,0,1]
	v_mul_f16_e32 v147, 0x35c8, v37
	v_add_f16_e32 v28, v28, v39
	v_pack_b32_f16 v33, v134, v175
	v_pack_b32_f16 v34, v135, v176
	v_pk_add_f16 v32, v32, v0 op_sel_hi:[1,0]
	v_pk_fma_f16 v38, 0xbbdd3b76, v67, v157 op_sel_hi:[1,0,1]
	v_pk_add_f16 v39, v30, v31
	v_fma_f16 v30, v181, 0x3b76, -v147
	v_mul_f16_e32 v178, 0xb836, v37
	v_pk_add_f16 v192, v33, v34 neg_lo:[0,1] neg_hi:[0,1]
	v_pk_add_f16 v31, v38, v32
	v_pk_fma_f16 v32, 0xb461bacd, v71, v159 op_sel_hi:[1,0,1]
	v_add_f16_e32 v30, v30, v182
	v_fma_f16 v33, v181, 0xbacd, -v178
	v_mul_f16_e32 v182, 0x3964, v37
	v_mul_f16_e32 v186, 0xba62, v37
	v_pk_add_f16 v32, v32, v31
	v_pk_fma_f16 v34, 0x3b7639e9, v68, v165 op_sel_hi:[1,0,1]
	v_add_f16_e32 v31, v33, v184
	v_fma_f16 v33, v181, 0x39e9, -v182
	v_mul_f16_e32 v187, 0x3b29, v37
	v_fma_f16 v38, v181, 0xb8d2, -v186
	v_pk_add_f16 v34, v34, v32
	v_pk_fma_f16 v184, 0x3722b8d2, v80, v167 op_sel_hi:[1,0,1]
	v_add_f16_e32 v32, v33, v9
	v_fma_f16 v9, v181, 0x3722, -v187
	v_mul_f16_e32 v193, 0xbbb2, v37
	v_add_f16_e32 v33, v38, v12
	v_pk_add_f16 v12, v184, v34
	v_pk_fma_f16 v38, 0xbacd3722, v81, v170 op_sel_hi:[1,0,1]
	v_add_f16_e32 v34, v9, v189
	v_fmamk_f16 v9, v181, 0xb461, v193
	v_fma_f16 v184, v181, 0xb461, -v193
	v_mul_f16_e32 v37, 0x3bf7, v37
	v_pk_add_f16 v12, v38, v12
	v_pk_fma_f16 v189, 0xb8d2b461, v83, v174 op_sel_hi:[1,0,1]
	v_add_f16_e32 v38, v9, v36
	v_add_f16_e32 v36, v184, v40
	v_mul_f16_e32 v184, 0xba62, v35
	v_fmamk_f16 v9, v181, 0x2de8, v37
	v_pk_add_f16 v12, v189, v12
	v_pk_fma_f16 v189, 0x39e92de8, v85, v176 op_sel_hi:[1,0,1]
	v_fma_f16 v193, v181, 0x2de8, -v37
	v_fmamk_f16 v194, v85, 0xb8d2, v184
	v_add_f16_e32 v40, v9, v190
	v_pk_add_f16 v35, v192, v39
	v_pk_add_f16 v37, v189, v12
	v_add_f16_e32 v39, v193, v191
	v_add_f16_e32 v9, v194, v188
	;; [unrolled: 1-line block ×3, first 2 shown]
	v_mul_lo_u16 v29, v26, 17
	s_barrier
	buffer_gl0_inv
	s_and_saveexec_b32 s4, vcc_lo
	s_cbranch_execz .LBB0_7
; %bb.6:
	v_mul_f16_e32 v192, 0xb8d2, v69
	v_mul_f16_e32 v193, 0xb461, v67
	;; [unrolled: 1-line block ×5, first 2 shown]
	v_sub_f16_e32 v105, v192, v105
	v_sub_f16_e32 v106, v193, v106
	v_add_f16_e32 v152, v152, v171
	v_mul_f16_e32 v195, 0xbacd, v68
	v_sub_f16_e32 v107, v194, v107
	v_add_f16_e32 v105, v105, v0
	v_mul_f16_e32 v189, 0x3b76, v136
	v_add_f16_e32 v150, v150, v188
	v_add_f16_sdwa v152, v152, v0 dst_sel:DWORD dst_unused:UNUSED_PAD src0_sel:DWORD src1_sel:WORD_1
	v_sub_f16_e32 v109, v195, v109
	v_add_f16_e32 v105, v106, v105
	v_mul_f16_e32 v190, 0xbacd, v141
	v_add_f16_e32 v163, v163, v189
	v_add_f16_e32 v150, v150, v152
	v_mul_f16_e32 v191, 0x2de8, v145
	v_add_f16_e32 v105, v107, v105
	v_mul_f16_e32 v107, 0xb461, v122
	v_add_f16_e32 v177, v177, v190
	v_add_f16_e32 v150, v163, v150
	v_mul_f16_e32 v171, 0x39e9, v149
	v_add_f16_e32 v105, v109, v105
	v_mul_f16_e32 v109, 0x2de8, v80
	;; [unrolled: 2-line block ×3, first 2 shown]
	v_add_f16_e32 v180, v180, v191
	v_add_f16_e32 v150, v177, v150
	v_sub_f16_e32 v103, v109, v103
	v_mul_f16_e32 v109, 0x39e9, v81
	v_add_f16_e32 v137, v140, v137
	v_add_f16_sdwa v107, v107, v0 dst_sel:DWORD dst_unused:UNUSED_PAD src0_sel:DWORD src1_sel:WORD_1
	v_mul_f16_e32 v188, 0xbbdd, v154
	v_add_f16_e32 v103, v103, v105
	v_mul_f16_e32 v105, 0x39e9, v136
	v_sub_f16_e32 v104, v109, v104
	v_add_f16_e32 v107, v137, v107
	v_mul_f16_e32 v137, 0xbbdd, v83
	v_add_f16_e32 v171, v183, v171
	v_add_f16_e32 v106, v180, v150
	;; [unrolled: 1-line block ×4, first 2 shown]
	v_sub_f16_e32 v102, v137, v102
	v_mul_f16_e32 v137, 0x3722, v141
	v_mul_f16_e32 v152, 0x3b76, v69
	;; [unrolled: 1-line block ×5, first 2 shown]
	v_add_f16_e32 v180, v185, v188
	v_add_f16_e32 v106, v171, v106
	v_mul_f16_e32 v69, 0xb461, v69
	v_add_f16_e32 v105, v105, v107
	v_add_f16_e32 v137, v153, v137
	;; [unrolled: 1-line block ×3, first 2 shown]
	v_mul_f16_e32 v103, 0xbbdd, v145
	v_add_f16_e32 v163, v187, v163
	v_add_f16_e32 v106, v180, v106
	v_mul_f16_e32 v140, 0x39e9, v67
	v_mul_f16_e32 v109, 0x2de8, v67
	;; [unrolled: 1-line block ×4, first 2 shown]
	v_add_f16_e32 v105, v137, v105
	v_sub_f16_e32 v69, v69, v112
	v_add_f16_e32 v103, v160, v103
	v_mul_f16_e32 v153, 0x3722, v71
	v_add_f16_e32 v106, v163, v106
	v_mul_f16_e32 v163, 0xb8d2, v71
	v_mul_f16_e32 v112, 0xbbdd, v71
	v_sub_f16_e32 v67, v67, v118
	v_mul_f16_e32 v71, 0x39e9, v71
	v_add_f16_e32 v69, v69, v0
	v_add_f16_e32 v103, v103, v105
	v_mul_f16_e32 v105, 0x2de8, v149
	v_sub_f16_e32 v61, v150, v61
	v_mul_f16_e32 v160, 0x3722, v85
	v_add_f16_e32 v67, v67, v69
	v_sub_f16_e32 v71, v71, v138
	v_add_f16_e32 v105, v173, v105
	v_add_f16_e32 v61, v61, v0
	v_sub_f16_e32 v64, v104, v64
	v_mul_f16_e32 v177, 0x39e9, v122
	v_sub_f16_e32 v99, v160, v99
	v_mul_f16_e32 v160, 0x2de8, v68
	v_mul_f16_e32 v69, 0xbbdd, v68
	;; [unrolled: 1-line block ×4, first 2 shown]
	v_add_f16_e32 v67, v71, v67
	v_mul_f16_e32 v71, 0x3b76, v154
	v_add_f16_e32 v103, v105, v103
	v_mul_f16_e32 v105, 0xbbdd, v80
	v_add_f16_e32 v61, v64, v61
	v_sub_f16_e32 v64, v112, v65
	v_mul_f16_e32 v171, 0x3722, v122
	v_mul_f16_e32 v122, 0x2de8, v122
	v_mul_f16_e32 v146, 0x2de8, v117
	v_add_f16_e32 v71, v179, v71
	v_mul_f16_e32 v179, 0xb461, v80
	v_sub_f16_e32 v105, v105, v151
	v_mul_f16_e32 v151, 0xbacd, v80
	v_mul_f16_e32 v180, 0x2de8, v81
	;; [unrolled: 1-line block ×3, first 2 shown]
	v_add_f16_e32 v61, v64, v61
	v_sub_f16_e32 v64, v68, v74
	v_add_f16_e32 v68, v87, v177
	v_mul_f16_e32 v137, 0xb8d2, v136
	v_sub_f16_e32 v138, v138, v143
	v_sub_f16_e32 v156, v180, v156
	v_mul_f16_e32 v180, 0xb8d2, v81
	v_add_f16_e32 v95, v95, v122
	v_mul_f16_e32 v122, 0xb461, v81
	v_mul_f16_e32 v81, 0x3b76, v81
	v_sub_f16_e32 v59, v189, v59
	v_add_f16_e32 v61, v64, v61
	v_sub_f16_e32 v64, v80, v73
	v_add_f16_sdwa v68, v68, v0 dst_sel:DWORD dst_unused:UNUSED_PAD src0_sel:DWORD src1_sel:WORD_1
	v_add_f16_e32 v73, v86, v146
	v_mul_f16_e32 v173, 0xbbdd, v141
	v_add_f16_e32 v67, v138, v67
	v_add_f16_e32 v59, v59, v0
	v_sub_f16_e32 v60, v109, v60
	v_add_f16_e32 v61, v64, v61
	v_sub_f16_e32 v64, v81, v76
	v_add_f16_e32 v68, v73, v68
	v_add_f16_e32 v73, v92, v137
	v_mul_f16_e32 v107, 0xb8d2, v117
	v_mul_f16_e32 v117, 0xbbdd, v117
	v_add_f16_e32 v71, v71, v103
	v_mul_f16_e32 v103, 0xbacd, v145
	v_add_f16_e32 v67, v105, v67
	v_add_f16_e32 v59, v60, v59
	v_sub_f16_e32 v60, v163, v62
	v_add_f16_e32 v61, v64, v61
	v_add_f16_e32 v64, v73, v68
	;; [unrolled: 1-line block ×3, first 2 shown]
	v_add_f16_sdwa v58, v58, v0 dst_sel:DWORD dst_unused:UNUSED_PAD src0_sel:DWORD src1_sel:WORD_1
	v_add_f16_e32 v1, v1, v0
	v_mul_f16_e32 v138, 0xb8d2, v181
	v_add_f16_e32 v96, v96, v117
	v_mul_f16_e32 v117, 0x3b76, v83
	v_add_f16_e32 v67, v156, v67
	v_mul_f16_e32 v156, 0xb461, v149
	v_add_f16_e32 v59, v60, v59
	v_sub_f16_e32 v60, v69, v63
	v_add_f16_e32 v63, v68, v64
	v_add_f16_e32 v64, v101, v103
	v_add_f16_e32 v57, v57, v58
	v_add_f16_e32 v1, v21, v1
	v_add_f16_e32 v138, v186, v138
	v_sub_f16_e32 v117, v117, v169
	v_mul_f16_e32 v183, 0x3722, v154
	v_add_f16_e32 v59, v60, v59
	v_sub_f16_e32 v60, v151, v66
	v_add_f16_e32 v63, v64, v63
	v_add_f16_e32 v64, v100, v156
	;; [unrolled: 1-line block ×4, first 2 shown]
	v_mul_f16_e32 v143, 0xb461, v141
	v_mul_f16_e32 v141, 0x3b76, v141
	v_add_f16_e32 v67, v117, v67
	v_mul_f16_e32 v117, 0x3722, v83
	v_add_f16_e32 v71, v138, v71
	;; [unrolled: 2-line block ×3, first 2 shown]
	v_sub_f16_e32 v58, v122, v70
	v_add_f16_e32 v59, v64, v63
	v_add_f16_e32 v22, v110, v183
	;; [unrolled: 1-line block ×5, first 2 shown]
	v_mul_f16_e32 v141, 0x3b76, v85
	v_add_f16_e32 v21, v58, v21
	v_sub_f16_e32 v57, v117, v72
	v_add_f16_e32 v19, v22, v59
	v_add_f16_e32 v22, v147, v138
	;; [unrolled: 1-line block ×5, first 2 shown]
	v_sub_f16_e32 v20, v141, v75
	v_add_f16_e32 v19, v22, v19
	v_add_f16_e32 v22, v113, v114
	;; [unrolled: 1-line block ×4, first 2 shown]
	v_mul_f16_e32 v118, 0xbbdd, v136
	v_mul_f16_e32 v136, 0xb461, v136
	v_add_f16_sdwa v95, v95, v0 dst_sel:DWORD dst_unused:UNUSED_PAD src0_sel:DWORD src1_sel:WORD_1
	v_add_f16_e32 v90, v90, v171
	v_add_f16_e32 v17, v20, v21
	v_sub_f16_e32 v20, v152, v78
	v_add_f16_sdwa v21, v22, v0 dst_sel:DWORD dst_unused:UNUSED_PAD src0_sel:DWORD src1_sel:WORD_1
	v_add_f16_e32 v22, v52, v53
	v_add_f16_e32 v1, v18, v1
	v_add_f16_e32 v95, v96, v95
	v_add_f16_e32 v111, v111, v136
	v_sub_f16_sdwa v161, v161, v162 dst_sel:DWORD dst_unused:UNUSED_PAD src0_sel:WORD_1 src1_sel:WORD_1
	v_alignbit_b32 v162, v0, v0, 16
	v_add_f16_sdwa v90, v90, v0 dst_sel:DWORD dst_unused:UNUSED_PAD src0_sel:DWORD src1_sel:WORD_1
	v_add_f16_e32 v0, v20, v0
	v_sub_f16_e32 v20, v140, v79
	v_add_f16_e32 v22, v51, v22
	v_add_f16_e32 v1, v15, v1
	v_mul_f16_e32 v105, 0x39e9, v145
	v_mul_f16_e32 v145, 0x3722, v145
	v_add_f16_e32 v95, v111, v95
	v_add_f16_e32 v0, v20, v0
	;; [unrolled: 1-line block ×5, first 2 shown]
	v_mul_f16_e32 v169, 0x3b76, v149
	v_mul_f16_e32 v149, 0xbacd, v149
	v_mul_f16_e32 v96, 0xb8d2, v85
	v_add_f16_e32 v95, v127, v95
	v_add_f16_e32 v127, v133, v145
	v_sub_f16_sdwa v133, v155, v157 dst_sel:DWORD dst_unused:UNUSED_PAD src0_sel:WORD_1 src1_sel:WORD_1
	v_add_f16_sdwa v145, v161, v162 dst_sel:DWORD dst_unused:UNUSED_PAD src0_sel:DWORD src1_sel:WORD_1
	v_add_f16_e32 v91, v91, v107
	v_sub_f16_e32 v16, v153, v84
	v_add_f16_e32 v20, v49, v20
	v_add_f16_e32 v1, v10, v1
	;; [unrolled: 1-line block ×4, first 2 shown]
	v_sub_f16_e32 v96, v96, v184
	v_add_f16_e32 v99, v99, v102
	v_mul_f16_e32 v102, 0x2de8, v154
	v_mul_f16_e32 v154, 0xb8d2, v154
	v_add_f16_e32 v95, v127, v95
	v_add_f16_e32 v107, v142, v149
	;; [unrolled: 1-line block ×3, first 2 shown]
	v_sub_f16_sdwa v133, v158, v159 dst_sel:DWORD dst_unused:UNUSED_PAD src0_sel:WORD_1 src1_sel:WORD_1
	v_add_f16_e32 v90, v91, v90
	v_add_f16_e32 v91, v97, v118
	;; [unrolled: 1-line block ×3, first 2 shown]
	v_sub_f16_e32 v10, v160, v88
	v_add_f16_e32 v16, v47, v20
	v_add_f16_e32 v1, v11, v1
	;; [unrolled: 1-line block ×5, first 2 shown]
	v_mul_f16_e32 v96, 0xbacd, v181
	v_mul_f16_e32 v181, 0x39e9, v181
	v_add_f16_e32 v95, v107, v95
	v_add_f16_e32 v97, v148, v154
	;; [unrolled: 1-line block ×3, first 2 shown]
	v_sub_f16_sdwa v118, v164, v165 dst_sel:DWORD dst_unused:UNUSED_PAD src0_sel:WORD_1 src1_sel:WORD_1
	v_add_f16_e32 v90, v91, v90
	v_add_f16_e32 v91, v108, v143
	;; [unrolled: 1-line block ×3, first 2 shown]
	v_sub_f16_e32 v10, v179, v89
	v_add_f16_e32 v16, v43, v16
	v_add_f16_e32 v1, v2, v1
	;; [unrolled: 1-line block ×7, first 2 shown]
	v_sub_f16_sdwa v108, v166, v167 dst_sel:DWORD dst_unused:UNUSED_PAD src0_sel:WORD_1 src1_sel:WORD_1
	v_add_f16_e32 v90, v91, v90
	v_add_f16_e32 v91, v124, v105
	;; [unrolled: 1-line block ×5, first 2 shown]
	v_mul_f16_e32 v136, 0xbacd, v83
	v_add_f16_e32 v2, v11, v15
	v_add_f16_e32 v11, v128, v129
	v_sub_f16_e32 v3, v180, v93
	v_mul_f16_e32 v83, 0x2de8, v83
	v_add_f16_e32 v95, v97, v95
	v_add_f16_e32 v97, v108, v107
	v_sub_f16_sdwa v105, v168, v170 dst_sel:DWORD dst_unused:UNUSED_PAD src0_sel:WORD_1 src1_sel:WORD_1
	v_add_f16_e32 v90, v91, v90
	v_add_f16_e32 v91, v139, v169
	;; [unrolled: 1-line block ×4, first 2 shown]
	v_mul_f16_e32 v111, 0xbbdd, v85
	v_add_f16_e32 v2, v11, v2
	v_add_f16_e32 v11, v130, v132
	;; [unrolled: 1-line block ×3, first 2 shown]
	v_sub_f16_e32 v3, v136, v98
	v_mul_f16_e32 v85, 0xbacd, v85
	v_add_f16_e32 v97, v105, v97
	v_sub_f16_sdwa v104, v172, v174 dst_sel:DWORD dst_unused:UNUSED_PAD src0_sel:WORD_1 src1_sel:WORD_1
	v_add_f16_e32 v90, v91, v90
	v_add_f16_e32 v91, v144, v102
	v_sub_f16_e32 v62, v83, v77
	v_add_f16_e32 v10, v45, v10
	v_add_f16_e32 v1, v14, v1
	;; [unrolled: 1-line block ×5, first 2 shown]
	v_sub_f16_e32 v3, v111, v131
	v_add_f16_e32 v65, v104, v97
	v_sub_f16_sdwa v97, v175, v176 dst_sel:DWORD dst_unused:UNUSED_PAD src0_sel:WORD_1 src1_sel:WORD_1
	v_add_f16_e32 v90, v91, v90
	v_add_f16_e32 v91, v178, v96
	;; [unrolled: 1-line block ×3, first 2 shown]
	v_sub_f16_e32 v62, v85, v82
	v_add_f16_sdwa v10, v44, v10 dst_sel:WORD_1 dst_unused:UNUSED_PAD src0_sel:DWORD src1_sel:DWORD
	v_add_f16_e32 v1, v42, v1
	v_and_b32_e32 v13, 0xffff, v29
	v_add_f16_e32 v2, v11, v2
	v_add_f16_e32 v0, v3, v0
	v_add_f16_e32 v65, v97, v65
	v_add_f16_e32 v74, v91, v90
	v_add_f16_e32 v3, v62, v61
	v_or_b32_sdwa v1, v10, v1 dst_sel:DWORD dst_unused:UNUSED_PAD src0_sel:DWORD src1_sel:WORD_0
	v_add_lshl_u32 v10, v41, v13, 2
	v_pack_b32_f16 v11, v17, v19
	v_pack_b32_f16 v0, v0, v2
	;; [unrolled: 1-line block ×6, first 2 shown]
	ds_write_b32 v10, v1
	ds_write2_b32 v10, v0, v11 offset0:1 offset1:2
	ds_write2_b32 v10, v2, v3 offset0:3 offset1:4
	ds_write2_b32 v10, v14, v13 offset0:5 offset1:6
	v_perm_b32 v0, v38, v12, 0x5040100
	v_alignbit_b32 v1, v40, v35, 16
	v_perm_b32 v2, v36, v7, 0x5040100
	v_perm_b32 v3, v39, v37, 0x5040100
	;; [unrolled: 1-line block ×5, first 2 shown]
	v_alignbit_b32 v15, v32, v37, 16
	v_perm_b32 v16, v30, v6, 0x5040100
	v_perm_b32 v17, v35, v28, 0x5040100
	ds_write2_b32 v10, v0, v1 offset0:7 offset1:8
	ds_write2_b32 v10, v3, v2 offset0:9 offset1:10
	;; [unrolled: 1-line block ×5, first 2 shown]
.LBB0_7:
	s_or_b32 exec_lo, exec_lo, s4
	v_mul_u32_u24_e32 v0, 6, v26
	s_load_dwordx4 s[4:7], s[2:3], 0x0
	s_waitcnt lgkmcnt(0)
	s_barrier
	buffer_gl0_inv
	v_lshlrev_b32_e32 v10, 2, v0
	v_add_lshl_u32 v22, v41, v26, 2
	v_lshl_add_u32 v21, v26, 2, v27
	s_clause 0x1
	global_load_dwordx4 v[0:3], v10, s[0:1]
	global_load_dwordx2 v[13:14], v10, s[0:1] offset:16
	ds_read2_b32 v[10:11], v22 offset1:17
	ds_read2_b32 v[15:16], v22 offset0:34 offset1:51
	ds_read2_b32 v[17:18], v22 offset0:68 offset1:85
	ds_read_b32 v19, v22 offset:408
	s_waitcnt lgkmcnt(3)
	v_lshrrev_b32_e32 v20, 16, v11
	s_waitcnt lgkmcnt(2)
	v_lshrrev_b32_e32 v41, 16, v15
	;; [unrolled: 2-line block ×4, first 2 shown]
	v_lshrrev_b32_e32 v42, 16, v16
	v_lshrrev_b32_e32 v43, 16, v17
	s_waitcnt vmcnt(1)
	v_mul_f16_sdwa v46, v20, v0 dst_sel:DWORD dst_unused:UNUSED_PAD src0_sel:DWORD src1_sel:WORD_1
	v_mul_f16_sdwa v47, v11, v0 dst_sel:DWORD dst_unused:UNUSED_PAD src0_sel:DWORD src1_sel:WORD_1
	;; [unrolled: 1-line block ×4, first 2 shown]
	s_waitcnt vmcnt(0)
	v_mul_f16_sdwa v54, v44, v13 dst_sel:DWORD dst_unused:UNUSED_PAD src0_sel:DWORD src1_sel:WORD_1
	v_mul_f16_sdwa v55, v18, v13 dst_sel:DWORD dst_unused:UNUSED_PAD src0_sel:DWORD src1_sel:WORD_1
	;; [unrolled: 1-line block ×8, first 2 shown]
	v_fma_f16 v11, v11, v0, -v46
	v_fmac_f16_e32 v47, v20, v0
	v_fma_f16 v15, v15, v1, -v48
	v_fmac_f16_e32 v49, v41, v1
	;; [unrolled: 2-line block ×6, first 2 shown]
	v_add_f16_e32 v20, v11, v19
	v_add_f16_e32 v41, v47, v57
	;; [unrolled: 1-line block ×4, first 2 shown]
	v_sub_f16_e32 v11, v11, v19
	v_sub_f16_e32 v19, v47, v57
	;; [unrolled: 1-line block ×3, first 2 shown]
	v_add_f16_e32 v44, v16, v17
	v_add_f16_e32 v45, v51, v53
	v_sub_f16_e32 v16, v17, v16
	v_add_f16_e32 v46, v42, v20
	v_add_f16_e32 v47, v43, v41
	v_sub_f16_e32 v18, v49, v55
	v_sub_f16_e32 v17, v53, v51
	v_sub_f16_e32 v48, v42, v20
	v_sub_f16_e32 v49, v43, v41
	v_sub_f16_e32 v20, v20, v44
	v_sub_f16_e32 v41, v41, v45
	v_sub_f16_e32 v42, v44, v42
	v_sub_f16_e32 v43, v45, v43
	v_add_f16_e32 v50, v16, v15
	v_sub_f16_e32 v52, v16, v15
	v_add_f16_e32 v44, v44, v46
	v_add_f16_e32 v45, v45, v47
	;; [unrolled: 1-line block ×3, first 2 shown]
	v_sub_f16_e32 v53, v17, v18
	v_sub_f16_e32 v16, v11, v16
	;; [unrolled: 1-line block ×3, first 2 shown]
	v_add_f16_e32 v11, v50, v11
	v_mul_f16_e32 v20, 0x3a52, v20
	v_mul_f16_e32 v46, 0x2b26, v42
	;; [unrolled: 1-line block ×3, first 2 shown]
	v_add_f16_e32 v54, v44, v10
	v_add_f16_sdwa v10, v45, v10 dst_sel:DWORD dst_unused:UNUSED_PAD src0_sel:DWORD src1_sel:WORD_1
	v_sub_f16_e32 v18, v18, v19
	v_sub_f16_e32 v17, v19, v17
	v_add_f16_e32 v19, v51, v19
	v_mul_f16_e32 v41, 0x3a52, v41
	v_mul_f16_e32 v47, 0x2b26, v43
	;; [unrolled: 1-line block ×4, first 2 shown]
	v_fmamk_f16 v42, v42, 0x2b26, v20
	v_fma_f16 v46, v48, 0x39e0, -v46
	v_fma_f16 v20, v48, 0xb9e0, -v20
	v_fmamk_f16 v48, v16, 0x3574, v50
	v_fma_f16 v50, v15, 0x3b00, -v50
	v_lshlrev_b32_e32 v15, 16, v10
	v_mul_f16_e32 v53, 0x3b00, v18
	v_fmamk_f16 v43, v43, 0x2b26, v41
	v_fma_f16 v47, v49, 0x39e0, -v47
	v_fma_f16 v41, v49, 0xb9e0, -v41
	v_fmamk_f16 v49, v17, 0x3574, v51
	v_fma_f16 v16, v16, 0xb574, -v52
	v_fmac_f16_e32 v10, 0xbcab, v45
	v_or_b32_sdwa v15, v15, v54 dst_sel:DWORD dst_unused:UNUSED_PAD src0_sel:DWORD src1_sel:WORD_0
	v_fmac_f16_e32 v54, 0xbcab, v44
	v_fma_f16 v51, v18, 0x3b00, -v51
	v_fma_f16 v52, v17, 0xb574, -v53
	v_fmac_f16_e32 v48, 0x370e, v11
	v_fmac_f16_e32 v49, 0x370e, v19
	;; [unrolled: 1-line block ×4, first 2 shown]
	v_add_f16_e32 v11, v43, v10
	v_add_f16_e32 v17, v47, v10
	;; [unrolled: 1-line block ×4, first 2 shown]
	v_fmac_f16_e32 v51, 0x370e, v19
	v_fmac_f16_e32 v52, 0x370e, v19
	v_add_f16_e32 v19, v46, v54
	v_add_f16_e32 v20, v20, v54
	v_sub_f16_e32 v46, v11, v48
	v_sub_f16_e32 v45, v10, v16
	v_add_f16_e32 v42, v16, v10
	v_add_f16_e32 v16, v49, v47
	;; [unrolled: 1-line block ×3, first 2 shown]
	v_sub_f16_e32 v43, v17, v50
	v_add_f16_e32 v17, v52, v20
	v_sub_f16_e32 v18, v19, v51
	v_add_f16_e32 v19, v51, v19
	v_sub_f16_e32 v20, v20, v52
	v_add_f16_e32 v41, v48, v11
	v_sub_f16_e32 v11, v47, v49
	v_pack_b32_f16 v10, v16, v46
	v_pack_b32_f16 v47, v17, v45
	;; [unrolled: 1-line block ×6, first 2 shown]
	ds_write2_b32 v21, v15, v10 offset1:17
	ds_write2_b32 v21, v47, v48 offset0:34 offset1:51
	ds_write2_b32 v21, v49, v50 offset0:68 offset1:85
	ds_write_b32 v21, v51 offset:408
	s_waitcnt lgkmcnt(0)
	s_barrier
	buffer_gl0_inv
	s_and_saveexec_b32 s2, vcc_lo
	s_cbranch_execz .LBB0_9
; %bb.8:
	s_add_u32 s0, s12, 0x1dc
	s_addc_u32 s1, s13, 0
	s_clause 0x10
	global_load_dword v10, v24, s[12:13] offset:476
	global_load_dword v63, v24, s[0:1] offset:28
	;; [unrolled: 1-line block ×17, first 2 shown]
	ds_read2_b32 v[47:48], v21 offset1:7
	ds_read2_b32 v[49:50], v21 offset0:14 offset1:21
	ds_read2_b32 v[51:52], v21 offset0:28 offset1:35
	;; [unrolled: 1-line block ×7, first 2 shown]
	ds_read_b32 v79, v21 offset:448
	s_waitcnt lgkmcnt(8)
	v_lshrrev_b32_e32 v80, 16, v47
	v_lshrrev_b32_e32 v81, 16, v48
	s_waitcnt lgkmcnt(7)
	v_lshrrev_b32_e32 v82, 16, v49
	v_lshrrev_b32_e32 v83, 16, v50
	;; [unrolled: 3-line block ×8, first 2 shown]
	s_waitcnt lgkmcnt(0)
	v_lshrrev_b32_e32 v96, 16, v79
	s_waitcnt vmcnt(16)
	v_mul_f16_sdwa v97, v80, v10 dst_sel:DWORD dst_unused:UNUSED_PAD src0_sel:DWORD src1_sel:WORD_1
	v_mul_f16_sdwa v98, v47, v10 dst_sel:DWORD dst_unused:UNUSED_PAD src0_sel:DWORD src1_sel:WORD_1
	s_waitcnt vmcnt(15)
	v_mul_f16_sdwa v99, v81, v63 dst_sel:DWORD dst_unused:UNUSED_PAD src0_sel:DWORD src1_sel:WORD_1
	v_mul_f16_sdwa v100, v48, v63 dst_sel:DWORD dst_unused:UNUSED_PAD src0_sel:DWORD src1_sel:WORD_1
	;; [unrolled: 3-line block ×17, first 2 shown]
	v_fma_f16 v47, v47, v10, -v97
	v_fmac_f16_e32 v98, v80, v10
	v_fma_f16 v10, v48, v63, -v99
	v_fmac_f16_e32 v100, v81, v63
	;; [unrolled: 2-line block ×17, first 2 shown]
	v_pack_b32_f16 v47, v47, v98
	v_pack_b32_f16 v10, v10, v100
	;; [unrolled: 1-line block ×17, first 2 shown]
	ds_write2_b32 v21, v47, v10 offset1:7
	ds_write2_b32 v21, v48, v49 offset0:14 offset1:21
	ds_write2_b32 v21, v50, v51 offset0:28 offset1:35
	;; [unrolled: 1-line block ×7, first 2 shown]
	ds_write_b32 v21, v62 offset:448
.LBB0_9:
	s_or_b32 exec_lo, exec_lo, s2
	s_waitcnt lgkmcnt(0)
	s_barrier
	buffer_gl0_inv
	s_and_saveexec_b32 s0, vcc_lo
	s_cbranch_execz .LBB0_11
; %bb.10:
	ds_read2_b32 v[15:16], v21 offset1:7
	ds_read2_b32 v[17:18], v21 offset0:14 offset1:21
	ds_read2_b32 v[19:20], v21 offset0:28 offset1:35
	ds_read2_b32 v[11:12], v21 offset0:42 offset1:49
	ds_read2_b32 v[47:48], v21 offset0:56 offset1:63
	ds_read2_b32 v[7:8], v21 offset0:70 offset1:77
	ds_read2_b32 v[9:10], v21 offset0:84 offset1:91
	ds_read2_b32 v[5:6], v21 offset0:98 offset1:105
	ds_read_b32 v28, v21 offset:448
	s_waitcnt lgkmcnt(8)
	v_lshrrev_b32_e32 v46, 16, v16
	s_waitcnt lgkmcnt(7)
	v_lshrrev_b32_e32 v45, 16, v17
	v_lshrrev_b32_e32 v44, 16, v18
	s_waitcnt lgkmcnt(6)
	v_lshrrev_b32_e32 v43, 16, v19
	;; [unrolled: 3-line block ×7, first 2 shown]
	v_lshrrev_b32_e32 v30, 16, v6
	v_perm_b32 v37, v10, v48, 0x5040100
	s_waitcnt lgkmcnt(0)
	v_alignbit_b32 v35, v47, v28, 16
.LBB0_11:
	s_or_b32 exec_lo, exec_lo, s0
	s_barrier
	buffer_gl0_inv
	s_and_saveexec_b32 s0, vcc_lo
	s_cbranch_execz .LBB0_13
; %bb.12:
	v_add_f16_e32 v139, v35, v46
	v_sub_f16_e32 v51, v16, v28
	v_add_f16_e32 v181, v30, v45
	v_sub_f16_e32 v48, v17, v6
	v_add_f16_e32 v187, v31, v44
	v_mul_f16_e32 v96, 0xbbdd, v139
	v_sub_f16_e32 v49, v18, v5
	v_mul_f16_e32 v81, 0x3b76, v181
	v_add_f16_e32 v183, v32, v43
	v_mul_f16_e32 v80, 0xbacd, v187
	v_fmamk_f16 v50, v51, 0x31e1, v96
	v_sub_f16_sdwa v47, v19, v37 dst_sel:DWORD dst_unused:UNUSED_PAD src0_sel:DWORD src1_sel:WORD_1
	v_fmamk_f16 v52, v48, 0xb5c8, v81
	v_add_f16_e32 v174, v33, v42
	v_mul_f16_e32 v76, 0x39e9, v183
	v_add_f16_sdwa v53, v50, v15 dst_sel:DWORD dst_unused:UNUSED_PAD src0_sel:DWORD src1_sel:WORD_1
	v_fmamk_f16 v54, v49, 0x3836, v80
	v_sub_f16_e32 v196, v46, v35
	v_sub_f16_e32 v10, v20, v9
	v_add_f16_e32 v170, v34, v41
	v_add_f16_e32 v52, v52, v53
	v_mul_f16_e32 v77, 0xb8d2, v174
	v_fmamk_f16 v53, v47, 0xb964, v76
	v_mul_f16_e32 v132, 0xb1e1, v196
	v_sub_f16_e32 v203, v45, v30
	v_add_f16_e32 v52, v54, v52
	v_add_f16_e32 v54, v28, v16
	v_sub_f16_e32 v50, v11, v8
	v_add_f16_e32 v162, v36, v38
	v_mul_f16_e32 v73, 0x3722, v170
	v_fmamk_f16 v56, v10, 0x3a62, v77
	v_add_f16_e32 v52, v53, v52
	v_add_f16_e32 v55, v6, v17
	v_fmamk_f16 v57, v54, 0xbbdd, v132
	v_mul_f16_e32 v107, 0x35c8, v203
	v_sub_f16_e32 v202, v44, v31
	v_fmamk_f16 v53, v50, 0xbb29, v73
	v_add_f16_e32 v58, v56, v52
	v_mul_f16_e32 v74, 0xb461, v162
	v_sub_f16_e32 v52, v12, v7
	v_add_f16_e32 v57, v57, v15
	v_fmamk_f16 v59, v55, 0x3b76, v107
	v_add_f16_e32 v56, v5, v18
	v_mul_f16_e32 v100, 0xb836, v202
	v_sub_f16_e32 v200, v43, v32
	v_add_f16_e32 v53, v53, v58
	v_fmamk_f16 v60, v52, 0x3bb2, v74
	v_add_f16_e32 v57, v59, v57
	v_fmamk_f16 v59, v56, 0xbacd, v100
	v_add_f16_sdwa v58, v37, v19 dst_sel:DWORD dst_unused:UNUSED_PAD src0_sel:WORD_1 src1_sel:DWORD
	v_mul_f16_e32 v93, 0x3964, v200
	v_sub_f16_e32 v197, v42, v33
	v_add_f16_e32 v53, v60, v53
	v_add_f16_e32 v194, v39, v40
	;; [unrolled: 1-line block ×3, first 2 shown]
	v_fmamk_f16 v61, v58, 0x39e9, v93
	v_add_f16_e32 v59, v9, v20
	v_mul_f16_e32 v88, 0xba62, v197
	v_sub_f16_e32 v195, v41, v34
	v_mul_f16_e32 v75, 0x2de8, v194
	v_sub_f16_sdwa v57, v35, v37 dst_sel:DWORD dst_unused:UNUSED_PAD src0_sel:WORD_1 src1_sel:DWORD
	v_add_f16_e32 v61, v61, v60
	v_fmamk_f16 v62, v59, 0xb8d2, v88
	v_add_f16_e32 v60, v8, v11
	v_mul_f16_e32 v87, 0x3b29, v195
	v_fmamk_f16 v63, v57, 0xbbf7, v75
	v_sub_f16_e32 v189, v38, v36
	v_add_f16_e32 v62, v62, v61
	v_mul_f16_e32 v126, 0xbacd, v139
	v_fmamk_f16 v64, v60, 0x3722, v87
	v_add_f16_e32 v53, v63, v53
	v_add_f16_e32 v61, v7, v12
	v_mul_f16_e32 v92, 0xbbb2, v189
	v_sub_f16_e32 v158, v40, v39
	v_add_f16_e32 v63, v64, v62
	v_fmamk_f16 v64, v51, 0x3836, v126
	v_mul_f16_e32 v111, 0x3722, v181
	v_fmamk_f16 v65, v61, 0xb461, v92
	v_add_f16_sdwa v62, v37, v35 dst_sel:DWORD dst_unused:UNUSED_PAD src0_sel:DWORD src1_sel:WORD_1
	v_mul_f16_e32 v82, 0x3bf7, v158
	v_add_f16_sdwa v64, v64, v15 dst_sel:DWORD dst_unused:UNUSED_PAD src0_sel:DWORD src1_sel:WORD_1
	v_fmamk_f16 v66, v48, 0xbb29, v111
	v_mul_f16_e32 v106, 0x2de8, v187
	v_add_f16_e32 v63, v65, v63
	v_fmamk_f16 v65, v62, 0x2de8, v82
	v_mul_f16_e32 v97, 0xb836, v196
	v_add_f16_e32 v64, v66, v64
	v_fmamk_f16 v66, v49, 0x3bf7, v106
	v_mul_f16_e32 v114, 0xb8d2, v183
	v_add_f16_e32 v63, v65, v63
	v_fmamk_f16 v65, v54, 0xbacd, v97
	v_mul_f16_e32 v98, 0x3b29, v203
	v_add_f16_e32 v64, v66, v64
	v_fmamk_f16 v66, v47, 0xba62, v114
	v_mul_f16_e32 v102, 0x3b76, v174
	v_add_f16_e32 v65, v65, v15
	v_fmamk_f16 v67, v55, 0x3722, v98
	v_mul_f16_e32 v89, 0xbbf7, v202
	v_add_f16_e32 v64, v66, v64
	v_fmamk_f16 v66, v10, 0x35c8, v102
	v_mul_f16_e32 v95, 0xbbdd, v170
	v_add_f16_e32 v65, v67, v65
	v_fmamk_f16 v67, v56, 0x2de8, v89
	v_mul_f16_e32 v90, 0x3a62, v200
	v_add_f16_e32 v64, v66, v64
	v_fmamk_f16 v66, v50, 0x31e1, v95
	v_mul_f16_e32 v94, 0x39e9, v162
	v_add_f16_e32 v65, v67, v65
	v_fmamk_f16 v67, v58, 0xb8d2, v90
	v_mul_f16_e32 v83, 0xb5c8, v197
	v_add_f16_e32 v64, v66, v64
	v_fmamk_f16 v66, v52, 0xb964, v94
	v_mul_f16_e32 v79, 0xb461, v194
	v_add_f16_e32 v65, v67, v65
	v_fmamk_f16 v67, v59, 0x3b76, v83
	v_mul_f16_e32 v84, 0xb1e1, v195
	v_add_f16_e32 v64, v66, v64
	v_fmamk_f16 v66, v57, 0x3bb2, v79
	v_mul_f16_e32 v112, 0xb8d2, v139
	v_add_f16_e32 v65, v67, v65
	v_fmamk_f16 v67, v60, 0xbbdd, v84
	v_mul_f16_e32 v85, 0x3964, v189
	v_add_f16_e32 v64, v66, v64
	v_fmamk_f16 v66, v51, 0x3a62, v112
	v_mul_f16_e32 v113, 0xb461, v181
	v_add_f16_e32 v65, v67, v65
	v_fmamk_f16 v67, v61, 0x39e9, v85
	v_mul_f16_e32 v86, 0xbbb2, v158
	v_add_f16_sdwa v66, v66, v15 dst_sel:DWORD dst_unused:UNUSED_PAD src0_sel:DWORD src1_sel:WORD_1
	v_fmamk_f16 v68, v48, 0xbbb2, v113
	v_mul_f16_e32 v99, 0x3b76, v187
	v_add_f16_e32 v65, v67, v65
	v_fmamk_f16 v67, v62, 0xb461, v86
	v_mul_f16_e32 v123, 0xba62, v196
	v_add_f16_e32 v66, v68, v66
	v_fmamk_f16 v68, v49, 0x35c8, v99
	v_mul_f16_e32 v115, 0xbacd, v183
	v_add_f16_e32 v65, v67, v65
	v_fmamk_f16 v67, v54, 0xb8d2, v123
	v_mul_f16_e32 v124, 0x3bb2, v203
	v_add_f16_e32 v66, v68, v66
	v_fmamk_f16 v68, v47, 0x3836, v115
	v_mul_f16_e32 v120, 0x2de8, v174
	v_add_f16_e32 v67, v67, v15
	v_fmamk_f16 v69, v55, 0xb461, v124
	v_mul_f16_e32 v127, 0xb5c8, v202
	v_add_f16_e32 v66, v68, v66
	v_fmamk_f16 v68, v10, 0xbbf7, v120
	v_mul_f16_e32 v121, 0x39e9, v170
	v_add_f16_e32 v67, v69, v67
	v_fmamk_f16 v69, v56, 0x3b76, v127
	v_mul_f16_e32 v128, 0xb836, v200
	v_add_f16_e32 v66, v68, v66
	v_fmamk_f16 v68, v50, 0x3964, v121
	v_mul_f16_e32 v108, 0xbbdd, v162
	v_add_f16_e32 v67, v69, v67
	v_fmamk_f16 v69, v58, 0xbacd, v128
	v_mul_f16_e32 v129, 0x3bf7, v197
	v_add_f16_e32 v66, v68, v66
	v_fmamk_f16 v68, v52, 0x31e1, v108
	v_mul_f16_e32 v91, 0x3722, v194
	v_add_f16_e32 v67, v69, v67
	v_fmamk_f16 v69, v59, 0x2de8, v129
	v_mul_f16_e32 v122, 0xb964, v195
	v_add_f16_e32 v66, v68, v66
	v_fmamk_f16 v68, v57, 0xbb29, v91
	v_mul_f16_e32 v133, 0xb461, v139
	v_add_f16_e32 v67, v69, v67
	v_fmamk_f16 v69, v60, 0x39e9, v122
	v_mul_f16_e32 v105, 0xb1e1, v189
	v_add_f16_e32 v66, v68, v66
	v_fmamk_f16 v68, v51, 0x3bb2, v133
	v_mul_f16_e32 v109, 0xbacd, v181
	v_add_f16_e32 v67, v69, v67
	v_fmamk_f16 v69, v61, 0xbbdd, v105
	;; [unrolled: 48-line block ×6, first 2 shown]
	v_mul_f16_e32 v193, 0x35c8, v158
	v_add_f16_sdwa v201, v201, v15 dst_sel:DWORD dst_unused:UNUSED_PAD src0_sel:DWORD src1_sel:WORD_1
	v_fmamk_f16 v206, v48, 0x3964, v181
	v_mul_f16_e32 v187, 0x3722, v187
	v_add_f16_e32 v204, v205, v204
	v_fmamk_f16 v205, v62, 0x3b76, v193
	v_mul_f16_e32 v174, 0xb461, v174
	v_add_f16_e32 v206, v206, v201
	v_fmamk_f16 v207, v49, 0x3b29, v187
	v_mul_f16_e32 v201, 0x2de8, v183
	v_add_f16_e32 v183, v205, v204
	v_mul_f16_e32 v170, 0xb8d2, v170
	v_mul_f16_e32 v162, 0xbacd, v162
	v_add_f16_e32 v205, v207, v206
	v_fmamk_f16 v206, v47, 0x3bf7, v201
	v_mul_f16_e32 v194, 0xbbdd, v194
	v_fmac_f16_e32 v96, 0xb1e1, v51
	v_fmac_f16_e32 v81, 0x35c8, v48
	v_fma_f16 v132, v54, 0xbbdd, -v132
	v_add_f16_e32 v205, v206, v205
	v_fmamk_f16 v206, v10, 0x3bb2, v174
	v_add_f16_sdwa v208, v96, v15 dst_sel:DWORD dst_unused:UNUSED_PAD src0_sel:DWORD src1_sel:WORD_1
	v_fmac_f16_e32 v80, 0xb836, v49
	v_add_f16_e32 v132, v132, v15
	v_fma_f16 v107, v55, 0x3b76, -v107
	v_add_f16_e32 v205, v206, v205
	v_fmamk_f16 v206, v50, 0x3a62, v170
	v_fmac_f16_e32 v76, 0x3964, v47
	v_fma_f16 v100, v56, 0xbacd, -v100
	v_add_f16_e32 v107, v107, v132
	v_fmac_f16_e32 v126, 0xb836, v51
	v_add_f16_e32 v205, v206, v205
	v_fmamk_f16 v206, v52, 0x3836, v162
	v_fmac_f16_e32 v77, 0xba62, v10
	v_fma_f16 v93, v58, 0x39e9, -v93
	v_fmac_f16_e32 v111, 0x3b29, v48
	v_fmac_f16_e32 v73, 0x3b29, v50
	v_add_f16_e32 v205, v206, v205
	v_fmamk_f16 v206, v57, 0x31e1, v194
	v_fmac_f16_e32 v106, 0xbbf7, v49
	v_fmac_f16_e32 v74, 0xbbb2, v52
	;; [unrolled: 1-line block ×4, first 2 shown]
	v_add_f16_e32 v96, v206, v205
	v_add_f16_e32 v206, v81, v208
	v_fmac_f16_e32 v102, 0xb5c8, v10
	v_fmac_f16_e32 v112, 0xba62, v51
	v_fma_f16 v82, v62, 0x2de8, -v82
	v_fmac_f16_e32 v113, 0x3bb2, v48
	v_add_f16_e32 v80, v80, v206
	v_fmac_f16_e32 v99, 0xb5c8, v49
	v_fmac_f16_e32 v115, 0xb836, v47
	;; [unrolled: 1-line block ×4, first 2 shown]
	v_add_f16_e32 v76, v76, v80
	v_add_f16_e32 v80, v100, v107
	v_add_f16_sdwa v100, v126, v15 dst_sel:DWORD dst_unused:UNUSED_PAD src0_sel:DWORD src1_sel:WORD_1
	v_fmac_f16_e32 v94, 0x3964, v52
	v_fmac_f16_e32 v121, 0xb964, v50
	v_add_f16_e32 v76, v77, v76
	v_add_f16_e32 v77, v93, v80
	v_fma_f16 v80, v59, 0xb8d2, -v88
	v_add_f16_e32 v88, v111, v100
	v_fmac_f16_e32 v79, 0xbbb2, v57
	v_add_f16_e32 v73, v73, v76
	v_fmac_f16_e32 v108, 0xb1e1, v52
	v_add_f16_e32 v76, v80, v77
	v_fma_f16 v77, v60, 0x3722, -v87
	v_add_f16_e32 v80, v106, v88
	v_add_f16_e32 v73, v74, v73
	v_fma_f16 v87, v54, 0xbacd, -v97
	v_fmac_f16_e32 v133, 0xbbb2, v51
	v_add_f16_e32 v74, v77, v76
	v_fma_f16 v76, v61, 0xb461, -v92
	v_add_f16_e32 v77, v114, v80
	v_add_f16_e32 v73, v75, v73
	v_fmac_f16_e32 v109, 0x3836, v48
	v_fmac_f16_e32 v110, 0x3964, v49
	v_add_f16_e32 v74, v76, v74
	v_add_f16_e32 v75, v102, v77
	;; [unrolled: 1-line block ×3, first 2 shown]
	v_fma_f16 v77, v55, 0x3722, -v98
	v_add_f16_sdwa v87, v112, v15 dst_sel:DWORD dst_unused:UNUSED_PAD src0_sel:DWORD src1_sel:WORD_1
	v_add_f16_e32 v74, v82, v74
	v_add_f16_e32 v75, v95, v75
	v_fmac_f16_e32 v153, 0xbbf7, v51
	v_add_f16_e32 v76, v77, v76
	v_fma_f16 v77, v56, 0x2de8, -v89
	v_add_f16_e32 v82, v113, v87
	v_fma_f16 v87, v54, 0xb8d2, -v123
	v_add_f16_e32 v75, v94, v75
	v_fmac_f16_e32 v154, 0xb1e1, v48
	v_add_f16_e32 v76, v77, v76
	v_fma_f16 v77, v58, 0xb8d2, -v90
	v_add_f16_e32 v82, v99, v82
	v_add_f16_e32 v75, v79, v75
	v_fmac_f16_e32 v155, 0x3bb2, v49
	v_fmac_f16_e32 v163, 0x35c8, v47
	v_add_f16_e32 v76, v77, v76
	v_fma_f16 v77, v59, 0x3b76, -v83
	v_add_f16_e32 v83, v87, v15
	v_fma_f16 v87, v55, 0xb461, -v124
	v_add_f16_e32 v82, v115, v82
	v_fmac_f16_e32 v157, 0xbb29, v10
	v_add_f16_e32 v76, v77, v76
	v_fma_f16 v77, v60, 0xbbdd, -v84
	v_add_f16_e32 v83, v87, v83
	v_fma_f16 v84, v56, 0x3b76, -v127
	v_add_f16_e32 v82, v120, v82
	;; [unrolled: 6-line block ×3, first 2 shown]
	v_fma_f16 v85, v55, 0xbacd, -v142
	v_add_f16_e32 v76, v77, v76
	v_fma_f16 v77, v62, 0xb461, -v86
	v_add_f16_e32 v83, v84, v83
	v_fma_f16 v84, v59, 0x2de8, -v129
	v_add_f16_sdwa v86, v153, v15 dst_sel:DWORD dst_unused:UNUSED_PAD src0_sel:DWORD src1_sel:WORD_1
	v_fma_f16 v87, v62, 0xb8d2, -v125
	v_add_f16_e32 v76, v77, v76
	v_add_f16_e32 v77, v108, v82
	;; [unrolled: 1-line block ×3, first 2 shown]
	v_fma_f16 v82, v60, 0x39e9, -v122
	v_add_f16_sdwa v83, v133, v15 dst_sel:DWORD dst_unused:UNUSED_PAD src0_sel:DWORD src1_sel:WORD_1
	v_fma_f16 v84, v54, 0xb461, -v140
	v_add_f16_e32 v86, v154, v86
	v_add_f16_sdwa v88, v165, v15 dst_sel:DWORD dst_unused:UNUSED_PAD src0_sel:DWORD src1_sel:WORD_1
	v_add_f16_e32 v79, v82, v79
	v_fma_f16 v82, v61, 0xbbdd, -v105
	v_add_f16_e32 v83, v109, v83
	v_add_f16_e32 v84, v84, v15
	v_add_f16_e32 v86, v155, v86
	v_fmac_f16_e32 v167, 0xba62, v48
	v_add_f16_e32 v79, v82, v79
	v_add_f16_e32 v82, v110, v83
	;; [unrolled: 1-line block ×3, first 2 shown]
	v_fma_f16 v84, v56, 0x39e9, -v144
	v_fma_f16 v85, v62, 0x3722, -v101
	v_add_f16_e32 v86, v163, v86
	v_fmac_f16_e32 v159, 0x31e1, v49
	v_fmac_f16_e32 v173, 0x3bb2, v47
	v_add_f16_e32 v83, v84, v83
	v_fma_f16 v84, v58, 0x3722, -v134
	v_add_f16_e32 v79, v85, v79
	v_fma_f16 v85, v54, 0x2de8, -v151
	v_fma_f16 v89, v55, 0xb8d2, -v182
	v_fmac_f16_e32 v176, 0x3964, v10
	v_add_f16_e32 v83, v84, v83
	v_fma_f16 v84, v59, 0xbbdd, -v135
	v_add_f16_e32 v85, v85, v15
	v_fmac_f16_e32 v178, 0xb5c8, v50
	v_fmac_f16_e32 v168, 0xbbf7, v52
	;; [unrolled: 1-line block ×3, first 2 shown]
	v_add_f16_e32 v83, v84, v83
	v_fma_f16 v84, v60, 0x2de8, -v136
	v_fmac_f16_e32 v91, 0x3b29, v57
	v_fmac_f16_e32 v175, 0xbbf7, v48
	v_fma_f16 v90, v54, 0x39e9, -v190
	v_fmac_f16_e32 v177, 0xba62, v49
	v_add_f16_e32 v83, v84, v83
	v_fma_f16 v84, v61, 0x3b76, -v138
	v_add_f16_e32 v77, v91, v77
	v_add_f16_e32 v90, v90, v15
	v_fma_f16 v91, v55, 0x2de8, -v198
	v_fmac_f16_e32 v192, 0xb1e1, v47
	v_add_f16_e32 v83, v84, v83
	v_add_f16_e32 v84, v157, v86
	v_fma_f16 v86, v55, 0xbbdd, -v152
	v_add_f16_e32 v90, v91, v90
	v_fma_f16 v91, v56, 0xb8d2, -v199
	v_add_f16_e32 v83, v87, v83
	v_add_f16_e32 v87, v167, v88
	;; [unrolled: 1-line block ×3, first 2 shown]
	v_fma_f16 v86, v56, 0xb461, -v145
	v_fma_f16 v88, v54, 0x3722, -v179
	v_add_f16_sdwa v46, v46, v15 dst_sel:DWORD dst_unused:UNUSED_PAD src0_sel:DWORD src1_sel:WORD_1
	v_add_f16_e32 v87, v159, v87
	v_add_f16_e32 v16, v16, v15
	;; [unrolled: 1-line block ×3, first 2 shown]
	v_fma_f16 v86, v58, 0x3b76, -v146
	v_add_f16_e32 v88, v88, v15
	v_add_f16_e32 v87, v173, v87
	v_add_f16_e32 v45, v45, v46
	v_add_f16_e32 v16, v17, v16
	v_add_f16_e32 v85, v86, v85
	v_fma_f16 v86, v59, 0x3722, -v130
	v_add_f16_e32 v88, v89, v88
	v_fma_f16 v89, v56, 0xbbdd, -v184
	v_add_f16_e32 v87, v176, v87
	;; [unrolled: 2-line block ×5, first 2 shown]
	v_add_f16_e32 v44, v44, v45
	v_add_f16_e32 v85, v86, v85
	v_fma_f16 v86, v61, 0xb8d2, -v137
	v_add_f16_e32 v88, v89, v88
	v_fma_f16 v89, v59, 0x39e9, -v186
	;; [unrolled: 2-line block ×4, first 2 shown]
	v_add_f16_e32 v43, v43, v44
	v_add_f16_e32 v16, v19, v16
	v_mul_f16_e32 v196, 0xb5c8, v196
	v_fmac_f16_e32 v166, 0xb5c8, v51
	v_add_f16_e32 v85, v86, v85
	v_add_f16_e32 v86, v168, v87
	;; [unrolled: 1-line block ×3, first 2 shown]
	v_fma_f16 v88, v60, 0x3b76, -v180
	v_add_f16_sdwa v89, v191, v15 dst_sel:DWORD dst_unused:UNUSED_PAD src0_sel:DWORD src1_sel:WORD_1
	v_add_f16_e32 v16, v20, v16
	v_fma_f16 v20, v61, 0x3722, -v188
	v_fmamk_f16 v204, v54, 0x3b76, v196
	v_add_f16_e32 v87, v88, v87
	v_fma_f16 v88, v61, 0x2de8, -v169
	v_add_f16_e32 v89, v175, v89
	v_add_f16_e32 v11, v11, v16
	v_mul_f16_e32 v203, 0xb964, v203
	v_add_f16_e32 v204, v204, v15
	v_add_f16_e32 v87, v88, v87
	v_fma_f16 v88, v62, 0xbacd, -v171
	v_add_f16_e32 v89, v177, v89
	v_add_f16_e32 v11, v12, v11
	v_fmamk_f16 v207, v55, 0x39e9, v203
	v_mul_f16_e32 v202, 0xbb29, v202
	v_add_f16_e32 v87, v88, v87
	v_add_f16_e32 v88, v192, v89
	;; [unrolled: 1-line block ×3, first 2 shown]
	v_fma_f16 v90, v58, 0xbbdd, -v160
	v_add_f16_sdwa v11, v35, v11 dst_sel:DWORD dst_unused:UNUSED_PAD src0_sel:WORD_1 src1_sel:DWORD
	v_add_f16_e32 v204, v207, v204
	v_fmamk_f16 v207, v56, 0x3722, v202
	v_mul_f16_e32 v200, 0xbbf7, v200
	v_add_f16_e32 v17, v90, v89
	v_add_f16_e32 v11, v37, v11
	v_fmac_f16_e32 v181, 0xb964, v48
	v_add_f16_e32 v204, v207, v204
	v_fmamk_f16 v207, v58, 0x2de8, v200
	v_add_f16_e32 v17, v46, v17
	v_add_f16_e32 v7, v7, v11
	v_mul_f16_e32 v197, 0xbbb2, v197
	v_fmac_f16_e32 v187, 0xbb29, v49
	v_fmac_f16_e32 v117, 0xb1e1, v10
	v_add_f16_e32 v17, v18, v17
	v_add_f16_e32 v18, v42, v43
	v_add_f16_e32 v7, v8, v7
	v_fmac_f16_e32 v143, 0x3836, v10
	v_fmac_f16_e32 v174, 0xbbb2, v10
	v_add_f16_e32 v16, v20, v17
	v_add_f16_e32 v18, v41, v18
	v_fma_f16 v17, v62, 0x3b76, -v193
	v_add_f16_sdwa v20, v166, v15 dst_sel:DWORD dst_unused:UNUSED_PAD src0_sel:DWORD src1_sel:WORD_1
	v_fma_f16 v10, v58, 0x2de8, -v200
	v_add_f16_e32 v7, v9, v7
	v_add_f16_e32 v18, v38, v18
	;; [unrolled: 1-line block ×3, first 2 shown]
	v_fma_f16 v16, v54, 0x3b76, -v196
	v_add_f16_e32 v204, v207, v204
	v_fmamk_f16 v207, v59, 0xb461, v197
	v_add_f16_e32 v17, v40, v18
	v_add_f16_e32 v18, v181, v20
	;; [unrolled: 1-line block ×3, first 2 shown]
	v_mul_f16_e32 v195, 0xba62, v195
	v_fmac_f16_e32 v116, 0xbb29, v47
	v_add_f16_e32 v16, v39, v17
	v_fma_f16 v17, v55, 0x39e9, -v203
	v_add_f16_e32 v18, v187, v18
	v_fmac_f16_e32 v201, 0xbbf7, v47
	v_add_f16_sdwa v7, v37, v7 dst_sel:DWORD dst_unused:UNUSED_PAD src0_sel:WORD_1 src1_sel:DWORD
	v_add_f16_e32 v16, v36, v16
	v_add_f16_e32 v11, v17, v15
	v_fma_f16 v15, v56, 0x3722, -v202
	v_add_f16_e32 v204, v207, v204
	v_fmamk_f16 v207, v60, 0xb8d2, v195
	v_add_f16_e32 v16, v34, v16
	v_mul_f16_e32 v189, 0xb836, v189
	v_add_f16_e32 v8, v15, v11
	v_add_f16_e32 v82, v116, v82
	;; [unrolled: 1-line block ×7, first 2 shown]
	v_fmamk_f16 v205, v61, 0xbacd, v189
	v_add_f16_e32 v10, v32, v11
	v_fma_f16 v11, v59, 0xb461, -v197
	v_mul_f16_e32 v81, 0xb1e1, v158
	v_add_f16_e32 v82, v117, v82
	v_fmac_f16_e32 v118, 0x3bf7, v50
	v_add_f16_e32 v10, v31, v10
	v_fmac_f16_e32 v150, 0xb836, v50
	;; [unrolled: 2-line block ×4, first 2 shown]
	v_add_f16_e32 v7, v11, v8
	v_fma_f16 v8, v60, 0xb8d2, -v195
	v_add_f16_e32 v10, v30, v10
	v_add_f16_e32 v5, v6, v5
	;; [unrolled: 1-line block ×3, first 2 shown]
	v_fmamk_f16 v132, v62, 0xbbdd, v81
	v_add_f16_e32 v82, v118, v82
	v_fmac_f16_e32 v119, 0xb5c8, v52
	v_add_f16_e32 v84, v150, v84
	v_fmac_f16_e32 v148, 0x3a62, v52
	;; [unrolled: 2-line block ×4, first 2 shown]
	v_add_f16_e32 v6, v8, v7
	v_fma_f16 v7, v61, 0xbacd, -v189
	v_add_f16_sdwa v8, v35, v10 dst_sel:WORD_1 dst_unused:UNUSED_PAD src0_sel:DWORD src1_sel:DWORD
	v_add_f16_e32 v5, v28, v5
	v_and_b32_e32 v10, 0xffff, v29
	v_add_f16_e32 v80, v132, v204
	v_add_f16_e32 v82, v119, v82
	v_fmac_f16_e32 v103, 0xba62, v57
	v_add_f16_e32 v84, v148, v84
	v_fmac_f16_e32 v104, 0x3964, v57
	v_fmac_f16_e32 v147, 0xb836, v57
	v_add_f16_e32 v19, v156, v88
	v_fmac_f16_e32 v161, 0x35c8, v57
	v_add_f16_e32 v9, v162, v9
	;; [unrolled: 2-line block ×3, first 2 shown]
	v_fma_f16 v7, v62, 0xbbdd, -v81
	v_or_b32_sdwa v5, v8, v5 dst_sel:DWORD dst_unused:UNUSED_PAD src0_sel:DWORD src1_sel:WORD_0
	v_lshl_add_u32 v8, v10, 2, v27
	v_pack_b32_f16 v10, v183, v139
	v_pack_b32_f16 v11, v80, v96
	v_add_f16_e32 v82, v103, v82
	v_pack_b32_f16 v15, v71, v70
	v_pack_b32_f16 v16, v78, v72
	v_add_f16_e32 v84, v104, v84
	v_add_f16_e32 v86, v147, v86
	v_pack_b32_f16 v17, v67, v66
	v_pack_b32_f16 v18, v69, v68
	v_add_f16_e32 v19, v161, v19
	v_add_f16_e32 v9, v194, v9
	;; [unrolled: 1-line block ×3, first 2 shown]
	ds_write_b32 v8, v5
	ds_write2_b32 v8, v11, v10 offset0:1 offset1:2
	ds_write2_b32 v8, v16, v15 offset0:3 offset1:4
	;; [unrolled: 1-line block ×3, first 2 shown]
	v_pack_b32_f16 v5, v63, v53
	v_pack_b32_f16 v7, v65, v64
	v_pack_b32_f16 v10, v76, v75
	v_pack_b32_f16 v11, v74, v73
	v_pack_b32_f16 v15, v83, v82
	v_pack_b32_f16 v16, v79, v77
	v_pack_b32_f16 v17, v87, v86
	v_pack_b32_f16 v18, v85, v84
	v_pack_b32_f16 v6, v6, v9
	v_pack_b32_f16 v9, v12, v19
	ds_write2_b32 v8, v7, v5 offset0:7 offset1:8
	ds_write2_b32 v8, v11, v10 offset0:9 offset1:10
	;; [unrolled: 1-line block ×5, first 2 shown]
.LBB0_13:
	s_or_b32 exec_lo, exec_lo, s0
	s_waitcnt lgkmcnt(0)
	s_barrier
	buffer_gl0_inv
	ds_read2_b32 v[5:6], v22 offset1:17
	ds_read2_b32 v[7:8], v22 offset0:34 offset1:51
	ds_read2_b32 v[9:10], v22 offset0:68 offset1:85
	ds_read_b32 v11, v22 offset:408
	s_waitcnt lgkmcnt(3)
	v_lshrrev_b32_e32 v12, 16, v6
	s_waitcnt lgkmcnt(2)
	v_lshrrev_b32_e32 v15, 16, v7
	v_mul_f16_sdwa v20, v0, v6 dst_sel:DWORD dst_unused:UNUSED_PAD src0_sel:WORD_1 src1_sel:DWORD
	v_lshrrev_b32_e32 v16, 16, v8
	s_waitcnt lgkmcnt(1)
	v_lshrrev_b32_e32 v17, 16, v9
	v_mul_f16_sdwa v30, v0, v12 dst_sel:DWORD dst_unused:UNUSED_PAD src0_sel:WORD_1 src1_sel:DWORD
	;; [unrolled: 4-line block ×3, first 2 shown]
	v_mul_f16_sdwa v27, v2, v8 dst_sel:DWORD dst_unused:UNUSED_PAD src0_sel:WORD_1 src1_sel:DWORD
	v_mul_f16_sdwa v29, v14, v11 dst_sel:DWORD dst_unused:UNUSED_PAD src0_sel:WORD_1 src1_sel:DWORD
	v_fma_f16 v12, v0, v12, -v20
	v_mul_f16_sdwa v20, v1, v15 dst_sel:DWORD dst_unused:UNUSED_PAD src0_sel:WORD_1 src1_sel:DWORD
	v_fmac_f16_e32 v30, v0, v6
	v_mul_f16_sdwa v0, v13, v10 dst_sel:DWORD dst_unused:UNUSED_PAD src0_sel:WORD_1 src1_sel:DWORD
	v_mul_f16_sdwa v28, v3, v9 dst_sel:DWORD dst_unused:UNUSED_PAD src0_sel:WORD_1 src1_sel:DWORD
	v_fma_f16 v15, v1, v15, -v22
	v_mul_f16_sdwa v22, v2, v16 dst_sel:DWORD dst_unused:UNUSED_PAD src0_sel:WORD_1 src1_sel:DWORD
	v_fma_f16 v16, v2, v16, -v27
	v_mul_f16_sdwa v27, v3, v17 dst_sel:DWORD dst_unused:UNUSED_PAD src0_sel:WORD_1 src1_sel:DWORD
	v_mul_f16_sdwa v31, v13, v18 dst_sel:DWORD dst_unused:UNUSED_PAD src0_sel:WORD_1 src1_sel:DWORD
	;; [unrolled: 1-line block ×3, first 2 shown]
	v_fmac_f16_e32 v20, v1, v7
	v_fma_f16 v1, v14, v19, -v29
	v_fma_f16 v0, v13, v18, -v0
	v_fmac_f16_e32 v22, v2, v8
	v_fmac_f16_e32 v27, v3, v9
	;; [unrolled: 1-line block ×3, first 2 shown]
	v_fma_f16 v2, v3, v17, -v28
	v_fmac_f16_e32 v31, v13, v10
	v_add_f16_e32 v6, v12, v1
	v_add_f16_e32 v9, v15, v0
	;; [unrolled: 1-line block ×3, first 2 shown]
	v_sub_f16_e32 v1, v12, v1
	v_add_f16_e32 v8, v20, v31
	v_sub_f16_e32 v0, v15, v0
	v_add_f16_e32 v12, v16, v2
	v_add_f16_e32 v15, v9, v6
	;; [unrolled: 1-line block ×4, first 2 shown]
	v_sub_f16_e32 v17, v9, v6
	v_sub_f16_e32 v6, v6, v12
	;; [unrolled: 1-line block ×3, first 2 shown]
	v_add_f16_e32 v12, v12, v15
	v_sub_f16_e32 v10, v20, v31
	v_sub_f16_e32 v13, v27, v22
	;; [unrolled: 1-line block ×6, first 2 shown]
	v_add_f16_e32 v11, v11, v14
	v_add_f16_sdwa v14, v12, v5 dst_sel:DWORD dst_unused:UNUSED_PAD src0_sel:DWORD src1_sel:WORD_1
	v_sub_f16_e32 v7, v30, v32
	v_add_f16_e32 v15, v13, v10
	v_add_f16_e32 v18, v2, v0
	v_sub_f16_e32 v19, v13, v10
	v_sub_f16_e32 v20, v2, v0
	v_add_f16_e32 v5, v11, v5
	v_lshlrev_b32_e32 v22, 16, v14
	v_sub_f16_e32 v10, v10, v7
	v_sub_f16_e32 v0, v0, v1
	;; [unrolled: 1-line block ×4, first 2 shown]
	v_add_f16_e32 v7, v15, v7
	v_add_f16_e32 v1, v18, v1
	v_or_b32_sdwa v15, v22, v5 dst_sel:DWORD dst_unused:UNUSED_PAD src0_sel:DWORD src1_sel:WORD_0
	v_mul_f16_e32 v3, 0x3a52, v3
	v_mul_f16_e32 v6, 0x3a52, v6
	;; [unrolled: 1-line block ×8, first 2 shown]
	v_fmac_f16_e32 v5, 0xbcab, v11
	v_fmac_f16_e32 v14, 0xbcab, v12
	v_fmamk_f16 v8, v8, 0x2b26, v3
	v_fmamk_f16 v9, v9, 0x2b26, v6
	v_fma_f16 v11, v16, 0x39e0, -v18
	v_fma_f16 v12, v17, 0x39e0, -v22
	;; [unrolled: 1-line block ×4, first 2 shown]
	v_fmamk_f16 v16, v13, 0xb574, v19
	v_fmamk_f16 v17, v2, 0xb574, v20
	v_fma_f16 v10, v10, 0xbb00, -v19
	v_fma_f16 v0, v0, 0xbb00, -v20
	;; [unrolled: 1-line block ×4, first 2 shown]
	v_add_f16_e32 v8, v8, v5
	v_add_f16_e32 v9, v9, v14
	v_fmac_f16_e32 v16, 0xb70e, v7
	v_fmac_f16_e32 v17, 0xb70e, v1
	v_add_f16_e32 v11, v11, v5
	v_add_f16_e32 v12, v12, v14
	;; [unrolled: 1-line block ×4, first 2 shown]
	v_fmac_f16_e32 v10, 0xb70e, v7
	v_fmac_f16_e32 v2, 0xb70e, v1
	;; [unrolled: 1-line block ×4, first 2 shown]
	v_add_f16_e32 v1, v17, v8
	v_sub_f16_e32 v6, v9, v16
	v_add_f16_e32 v7, v2, v3
	v_sub_f16_e32 v14, v5, v13
	v_sub_f16_e32 v18, v11, v0
	v_add_f16_e32 v19, v10, v12
	v_add_f16_e32 v0, v0, v11
	v_sub_f16_e32 v10, v12, v10
	v_sub_f16_e32 v2, v3, v2
	v_add_f16_e32 v3, v13, v5
	v_sub_f16_e32 v5, v8, v17
	v_add_f16_e32 v8, v16, v9
	v_pack_b32_f16 v1, v1, v6
	v_pack_b32_f16 v6, v7, v14
	;; [unrolled: 1-line block ×6, first 2 shown]
	ds_write2_b32 v21, v15, v1 offset1:17
	ds_write2_b32 v21, v6, v7 offset0:34 offset1:51
	ds_write2_b32 v21, v0, v2 offset0:68 offset1:85
	ds_write_b32 v21, v3 offset:408
	s_waitcnt lgkmcnt(0)
	s_barrier
	buffer_gl0_inv
	s_and_b32 exec_lo, exec_lo, vcc_lo
	s_cbranch_execz .LBB0_15
; %bb.14:
	global_load_dword v0, v24, s[12:13]
	ds_read_b32 v1, v21
	s_mov_b32 s8, 0x1135c811
	s_mov_b32 s9, 0x3f8135c8
	v_mad_u64_u32 v[7:8], null, s4, v26, 0
	s_mul_hi_u32 s3, s4, 28
	s_waitcnt lgkmcnt(0)
	v_lshrrev_b32_e32 v2, 16, v1
	s_waitcnt vmcnt(0)
	v_mul_f16_sdwa v3, v2, v0 dst_sel:DWORD dst_unused:UNUSED_PAD src0_sel:DWORD src1_sel:WORD_1
	v_mul_f16_sdwa v5, v1, v0 dst_sel:DWORD dst_unused:UNUSED_PAD src0_sel:DWORD src1_sel:WORD_1
	v_fmac_f16_e32 v3, v1, v0
	v_fma_f16 v0, v0, v2, -v5
	v_mad_u64_u32 v[5:6], null, s6, v4, 0
	s_mul_i32 s6, s4, 28
	v_cvt_f32_f16_e32 v1, v3
	v_cvt_f32_f16_e32 v2, v0
	v_cvt_f64_f32_e32 v[0:1], v1
	v_cvt_f64_f32_e32 v[2:3], v2
	v_mul_f64 v[0:1], v[0:1], s[8:9]
	v_mul_f64 v[2:3], v[2:3], s[8:9]
	v_and_or_b32 v0, 0x1ff, v1, v0
	v_and_or_b32 v2, 0x1ff, v3, v2
	v_lshrrev_b32_e32 v9, 8, v1
	v_bfe_u32 v11, v1, 20, 11
	v_bfe_u32 v12, v3, 20, 11
	v_cmp_ne_u32_e32 vcc_lo, 0, v0
	v_lshrrev_b32_e32 v10, 8, v3
	v_mov_b32_e32 v0, v8
	v_sub_nc_u32_e32 v14, 0x3f1, v11
	v_sub_nc_u32_e32 v15, 0x3f1, v12
	v_cndmask_b32_e64 v13, 0, 1, vcc_lo
	v_cmp_ne_u32_e32 vcc_lo, 0, v2
	v_add_nc_u32_e32 v11, 0xfffffc10, v11
	v_add_nc_u32_e32 v12, 0xfffffc10, v12
	v_lshrrev_b32_e32 v3, 16, v3
	v_and_or_b32 v13, 0xffe, v9, v13
	v_cndmask_b32_e64 v2, 0, 1, vcc_lo
	v_mad_u64_u32 v[8:9], null, s7, v4, v[6:7]
	v_med3_i32 v4, v14, 0, 13
	v_med3_i32 v14, v15, 0, 13
	v_and_or_b32 v2, 0xffe, v10, v2
	v_or_b32_e32 v15, 0x1000, v13
	v_mad_u64_u32 v[9:10], null, s5, v26, v[0:1]
	v_mov_b32_e32 v6, v8
	v_or_b32_e32 v16, 0x1000, v2
	v_lshrrev_b32_e32 v0, v4, v15
	v_lshrrev_b32_e32 v1, 16, v1
	v_mov_b32_e32 v8, v9
	v_lshrrev_b32_e32 v10, v14, v16
	v_lshlrev_b32_e32 v4, v4, v0
	v_lshlrev_b32_e32 v9, v14, v10
	v_cmp_ne_u32_e32 vcc_lo, v4, v15
	v_lshlrev_b64 v[4:5], 2, v[5:6]
	v_lshl_or_b32 v6, v11, 12, v13
	v_cndmask_b32_e64 v14, 0, 1, vcc_lo
	v_cmp_ne_u32_e32 vcc_lo, v9, v16
	v_or_b32_e32 v0, v0, v14
	v_cndmask_b32_e64 v9, 0, 1, vcc_lo
	v_cmp_gt_i32_e32 vcc_lo, 1, v11
	v_lshl_or_b32 v14, v12, 12, v2
	v_or_b32_e32 v9, v10, v9
	v_cndmask_b32_e32 v0, v6, v0, vcc_lo
	v_cmp_gt_i32_e32 vcc_lo, 1, v12
	v_and_b32_e32 v10, 7, v0
	v_cndmask_b32_e32 v6, v14, v9, vcc_lo
	v_cmp_ne_u32_e32 vcc_lo, 0, v13
	v_lshrrev_b32_e32 v0, 2, v0
	v_cmp_eq_u32_e64 s0, 3, v10
	v_and_b32_e32 v13, 7, v6
	v_cndmask_b32_e64 v9, 0, 1, vcc_lo
	v_cmp_ne_u32_e32 vcc_lo, 0, v2
	v_lshrrev_b32_e32 v6, 2, v6
	v_cmp_lt_i32_e64 s1, 5, v13
	v_cmp_eq_u32_e64 s2, 3, v13
	v_cndmask_b32_e64 v2, 0, 1, vcc_lo
	v_cmp_lt_i32_e32 vcc_lo, 5, v10
	v_lshl_or_b32 v9, v9, 9, 0x7c00
	v_lshl_or_b32 v2, v2, 9, 0x7c00
	s_or_b32 vcc_lo, s0, vcc_lo
	v_add_co_ci_u32_e32 v0, vcc_lo, 0, v0, vcc_lo
	s_or_b32 vcc_lo, s2, s1
	v_add_co_ci_u32_e32 v6, vcc_lo, 0, v6, vcc_lo
	v_cmp_gt_i32_e32 vcc_lo, 31, v11
	v_cndmask_b32_e32 v0, 0x7c00, v0, vcc_lo
	v_cmp_gt_i32_e32 vcc_lo, 31, v12
	v_cndmask_b32_e32 v10, 0x7c00, v6, vcc_lo
	v_cmp_eq_u32_e32 vcc_lo, 0x40f, v11
	v_lshlrev_b64 v[6:7], 2, v[7:8]
	v_cndmask_b32_e32 v0, v0, v9, vcc_lo
	v_cmp_eq_u32_e32 vcc_lo, 0x40f, v12
	v_and_or_b32 v8, 0x8000, v1, v0
	v_cndmask_b32_e32 v2, v10, v2, vcc_lo
	v_add_co_u32 v0, vcc_lo, s14, v4
	v_add_co_ci_u32_e32 v1, vcc_lo, s15, v5, vcc_lo
	v_and_or_b32 v4, 0x8000, v3, v2
	v_and_b32_e32 v5, 0xffff, v8
	v_add_co_u32 v2, vcc_lo, v0, v6
	v_add_co_ci_u32_e32 v3, vcc_lo, v1, v7, vcc_lo
	v_lshl_or_b32 v4, v4, 16, v5
	global_store_dword v[2:3], v4, off
	global_load_dword v6, v24, s[12:13] offset:28
	ds_read2_b32 v[4:5], v21 offset0:7 offset1:14
	s_waitcnt lgkmcnt(0)
	v_lshrrev_b32_e32 v7, 16, v4
	s_waitcnt vmcnt(0)
	v_mul_f16_sdwa v8, v7, v6 dst_sel:DWORD dst_unused:UNUSED_PAD src0_sel:DWORD src1_sel:WORD_1
	v_mul_f16_sdwa v9, v4, v6 dst_sel:DWORD dst_unused:UNUSED_PAD src0_sel:DWORD src1_sel:WORD_1
	v_fmac_f16_e32 v8, v4, v6
	v_fma_f16 v4, v6, v7, -v9
	v_cvt_f32_f16_e32 v6, v8
	v_cvt_f32_f16_e32 v4, v4
	v_cvt_f64_f32_e32 v[6:7], v6
	v_cvt_f64_f32_e32 v[8:9], v4
	v_mul_f64 v[6:7], v[6:7], s[8:9]
	v_mul_f64 v[8:9], v[8:9], s[8:9]
	v_and_or_b32 v4, 0x1ff, v7, v6
	v_and_or_b32 v8, 0x1ff, v9, v8
	v_lshrrev_b32_e32 v6, 8, v7
	v_bfe_u32 v10, v7, 20, 11
	v_lshrrev_b32_e32 v11, 8, v9
	v_cmp_ne_u32_e32 vcc_lo, 0, v4
	v_bfe_u32 v12, v9, 20, 11
	v_lshrrev_b32_e32 v7, 16, v7
	v_sub_nc_u32_e32 v13, 0x3f1, v10
	v_add_nc_u32_e32 v10, 0xfffffc10, v10
	v_cndmask_b32_e64 v4, 0, 1, vcc_lo
	v_cmp_ne_u32_e32 vcc_lo, 0, v8
	v_lshrrev_b32_e32 v9, 16, v9
	v_and_or_b32 v4, 0xffe, v6, v4
	v_cndmask_b32_e64 v8, 0, 1, vcc_lo
	v_sub_nc_u32_e32 v6, 0x3f1, v12
	v_add_nc_u32_e32 v12, 0xfffffc10, v12
	v_and_or_b32 v8, 0xffe, v11, v8
	v_med3_i32 v11, v13, 0, 13
	v_or_b32_e32 v13, 0x1000, v4
	v_med3_i32 v6, v6, 0, 13
	v_or_b32_e32 v14, 0x1000, v8
	v_lshrrev_b32_e32 v15, v11, v13
	v_lshrrev_b32_e32 v16, v6, v14
	v_lshlrev_b32_e32 v11, v11, v15
	v_lshlrev_b32_e32 v6, v6, v16
	v_cmp_ne_u32_e32 vcc_lo, v11, v13
	v_lshl_or_b32 v13, v10, 12, v4
	v_cndmask_b32_e64 v11, 0, 1, vcc_lo
	v_cmp_ne_u32_e32 vcc_lo, v6, v14
	v_lshl_or_b32 v14, v12, 12, v8
	v_or_b32_e32 v11, v15, v11
	v_cndmask_b32_e64 v6, 0, 1, vcc_lo
	v_cmp_gt_i32_e32 vcc_lo, 1, v10
	v_or_b32_e32 v6, v16, v6
	v_cndmask_b32_e32 v11, v13, v11, vcc_lo
	v_cmp_gt_i32_e32 vcc_lo, 1, v12
	v_and_b32_e32 v13, 7, v11
	v_cndmask_b32_e32 v6, v14, v6, vcc_lo
	v_cmp_ne_u32_e32 vcc_lo, 0, v4
	v_lshrrev_b32_e32 v11, 2, v11
	v_cmp_eq_u32_e64 s0, 3, v13
	v_and_b32_e32 v14, 7, v6
	v_cndmask_b32_e64 v4, 0, 1, vcc_lo
	v_cmp_ne_u32_e32 vcc_lo, 0, v8
	v_lshrrev_b32_e32 v6, 2, v6
	v_cmp_lt_i32_e64 s1, 5, v14
	v_cmp_eq_u32_e64 s2, 3, v14
	v_cndmask_b32_e64 v8, 0, 1, vcc_lo
	v_cmp_lt_i32_e32 vcc_lo, 5, v13
	v_lshl_or_b32 v4, v4, 9, 0x7c00
	v_lshl_or_b32 v8, v8, 9, 0x7c00
	s_or_b32 vcc_lo, s0, vcc_lo
	s_mul_i32 s0, s5, 28
	v_add_co_ci_u32_e32 v11, vcc_lo, 0, v11, vcc_lo
	s_or_b32 vcc_lo, s2, s1
	s_add_i32 s3, s3, s0
	v_add_co_ci_u32_e32 v6, vcc_lo, 0, v6, vcc_lo
	v_cmp_gt_i32_e32 vcc_lo, 31, v10
	v_cndmask_b32_e32 v11, 0x7c00, v11, vcc_lo
	v_cmp_gt_i32_e32 vcc_lo, 31, v12
	v_cndmask_b32_e32 v6, 0x7c00, v6, vcc_lo
	v_cmp_eq_u32_e32 vcc_lo, 0x40f, v10
	v_cndmask_b32_e32 v4, v11, v4, vcc_lo
	v_cmp_eq_u32_e32 vcc_lo, 0x40f, v12
	v_and_or_b32 v4, 0x8000, v7, v4
	v_cndmask_b32_e32 v6, v6, v8, vcc_lo
	v_add_co_u32 v2, vcc_lo, v2, s6
	v_add_co_ci_u32_e32 v3, vcc_lo, s3, v3, vcc_lo
	v_and_or_b32 v6, 0x8000, v9, v6
	v_and_b32_e32 v4, 0xffff, v4
	v_lshl_or_b32 v4, v6, 16, v4
	v_lshrrev_b32_e32 v6, 16, v5
	global_store_dword v[2:3], v4, off
	global_load_dword v4, v24, s[12:13] offset:56
	s_waitcnt vmcnt(0)
	v_mul_f16_sdwa v7, v6, v4 dst_sel:DWORD dst_unused:UNUSED_PAD src0_sel:DWORD src1_sel:WORD_1
	v_mul_f16_sdwa v8, v5, v4 dst_sel:DWORD dst_unused:UNUSED_PAD src0_sel:DWORD src1_sel:WORD_1
	v_fmac_f16_e32 v7, v5, v4
	v_fma_f16 v4, v4, v6, -v8
	v_cvt_f32_f16_e32 v5, v7
	v_cvt_f32_f16_e32 v6, v4
	v_cvt_f64_f32_e32 v[4:5], v5
	v_cvt_f64_f32_e32 v[6:7], v6
	v_mul_f64 v[4:5], v[4:5], s[8:9]
	v_mul_f64 v[6:7], v[6:7], s[8:9]
	v_and_or_b32 v4, 0x1ff, v5, v4
	v_and_or_b32 v6, 0x1ff, v7, v6
	v_lshrrev_b32_e32 v8, 8, v5
	v_bfe_u32 v9, v5, 20, 11
	v_lshrrev_b32_e32 v10, 8, v7
	v_cmp_ne_u32_e32 vcc_lo, 0, v4
	v_bfe_u32 v11, v7, 20, 11
	v_lshrrev_b32_e32 v5, 16, v5
	v_sub_nc_u32_e32 v12, 0x3f1, v9
	v_add_nc_u32_e32 v9, 0xfffffc10, v9
	v_cndmask_b32_e64 v4, 0, 1, vcc_lo
	v_cmp_ne_u32_e32 vcc_lo, 0, v6
	v_lshrrev_b32_e32 v7, 16, v7
	v_and_or_b32 v4, 0xffe, v8, v4
	v_cndmask_b32_e64 v6, 0, 1, vcc_lo
	v_sub_nc_u32_e32 v8, 0x3f1, v11
	v_add_nc_u32_e32 v11, 0xfffffc10, v11
	v_and_or_b32 v6, 0xffe, v10, v6
	v_med3_i32 v10, v12, 0, 13
	v_or_b32_e32 v12, 0x1000, v4
	v_med3_i32 v8, v8, 0, 13
	v_or_b32_e32 v13, 0x1000, v6
	v_lshrrev_b32_e32 v14, v10, v12
	v_lshrrev_b32_e32 v15, v8, v13
	v_lshlrev_b32_e32 v10, v10, v14
	v_lshlrev_b32_e32 v8, v8, v15
	v_cmp_ne_u32_e32 vcc_lo, v10, v12
	v_lshl_or_b32 v12, v9, 12, v4
	v_cndmask_b32_e64 v10, 0, 1, vcc_lo
	v_cmp_ne_u32_e32 vcc_lo, v8, v13
	v_lshl_or_b32 v13, v11, 12, v6
	v_or_b32_e32 v10, v14, v10
	v_cndmask_b32_e64 v8, 0, 1, vcc_lo
	v_cmp_gt_i32_e32 vcc_lo, 1, v9
	v_or_b32_e32 v8, v15, v8
	v_cndmask_b32_e32 v10, v12, v10, vcc_lo
	v_cmp_gt_i32_e32 vcc_lo, 1, v11
	v_and_b32_e32 v12, 7, v10
	v_cndmask_b32_e32 v8, v13, v8, vcc_lo
	v_cmp_ne_u32_e32 vcc_lo, 0, v4
	v_lshrrev_b32_e32 v10, 2, v10
	v_cmp_eq_u32_e64 s0, 3, v12
	v_and_b32_e32 v13, 7, v8
	v_cndmask_b32_e64 v4, 0, 1, vcc_lo
	v_cmp_ne_u32_e32 vcc_lo, 0, v6
	v_lshrrev_b32_e32 v8, 2, v8
	v_cmp_lt_i32_e64 s1, 5, v13
	v_cmp_eq_u32_e64 s2, 3, v13
	v_cndmask_b32_e64 v6, 0, 1, vcc_lo
	v_cmp_lt_i32_e32 vcc_lo, 5, v12
	v_lshl_or_b32 v4, v4, 9, 0x7c00
	v_lshl_or_b32 v6, v6, 9, 0x7c00
	s_or_b32 vcc_lo, s0, vcc_lo
	v_add_co_ci_u32_e32 v10, vcc_lo, 0, v10, vcc_lo
	s_or_b32 vcc_lo, s2, s1
	v_add_co_ci_u32_e32 v8, vcc_lo, 0, v8, vcc_lo
	v_cmp_gt_i32_e32 vcc_lo, 31, v9
	v_cndmask_b32_e32 v10, 0x7c00, v10, vcc_lo
	v_cmp_gt_i32_e32 vcc_lo, 31, v11
	v_cndmask_b32_e32 v8, 0x7c00, v8, vcc_lo
	v_cmp_eq_u32_e32 vcc_lo, 0x40f, v9
	v_cndmask_b32_e32 v4, v10, v4, vcc_lo
	v_cmp_eq_u32_e32 vcc_lo, 0x40f, v11
	v_and_or_b32 v4, 0x8000, v5, v4
	v_cndmask_b32_e32 v6, v8, v6, vcc_lo
	v_add_co_u32 v2, vcc_lo, v2, s6
	v_add_co_ci_u32_e32 v3, vcc_lo, s3, v3, vcc_lo
	v_and_or_b32 v5, 0x8000, v7, v6
	v_and_b32_e32 v4, 0xffff, v4
	v_lshl_or_b32 v4, v5, 16, v4
	global_store_dword v[2:3], v4, off
	global_load_dword v6, v24, s[12:13] offset:84
	ds_read2_b32 v[4:5], v21 offset0:21 offset1:28
	s_waitcnt lgkmcnt(0)
	v_lshrrev_b32_e32 v7, 16, v4
	s_waitcnt vmcnt(0)
	v_mul_f16_sdwa v8, v7, v6 dst_sel:DWORD dst_unused:UNUSED_PAD src0_sel:DWORD src1_sel:WORD_1
	v_mul_f16_sdwa v9, v4, v6 dst_sel:DWORD dst_unused:UNUSED_PAD src0_sel:DWORD src1_sel:WORD_1
	v_fmac_f16_e32 v8, v4, v6
	v_fma_f16 v4, v6, v7, -v9
	v_cvt_f32_f16_e32 v6, v8
	v_cvt_f32_f16_e32 v4, v4
	v_cvt_f64_f32_e32 v[6:7], v6
	v_cvt_f64_f32_e32 v[8:9], v4
	v_mul_f64 v[6:7], v[6:7], s[8:9]
	v_mul_f64 v[8:9], v[8:9], s[8:9]
	v_and_or_b32 v4, 0x1ff, v7, v6
	v_and_or_b32 v8, 0x1ff, v9, v8
	v_lshrrev_b32_e32 v6, 8, v7
	v_bfe_u32 v10, v7, 20, 11
	v_lshrrev_b32_e32 v11, 8, v9
	v_cmp_ne_u32_e32 vcc_lo, 0, v4
	v_bfe_u32 v12, v9, 20, 11
	v_lshrrev_b32_e32 v7, 16, v7
	v_sub_nc_u32_e32 v13, 0x3f1, v10
	v_add_nc_u32_e32 v10, 0xfffffc10, v10
	v_cndmask_b32_e64 v4, 0, 1, vcc_lo
	v_cmp_ne_u32_e32 vcc_lo, 0, v8
	v_lshrrev_b32_e32 v9, 16, v9
	v_and_or_b32 v4, 0xffe, v6, v4
	v_cndmask_b32_e64 v8, 0, 1, vcc_lo
	v_sub_nc_u32_e32 v6, 0x3f1, v12
	v_add_nc_u32_e32 v12, 0xfffffc10, v12
	v_and_or_b32 v8, 0xffe, v11, v8
	v_med3_i32 v11, v13, 0, 13
	v_or_b32_e32 v13, 0x1000, v4
	v_med3_i32 v6, v6, 0, 13
	v_or_b32_e32 v14, 0x1000, v8
	v_lshrrev_b32_e32 v15, v11, v13
	v_lshrrev_b32_e32 v16, v6, v14
	v_lshlrev_b32_e32 v11, v11, v15
	v_lshlrev_b32_e32 v6, v6, v16
	v_cmp_ne_u32_e32 vcc_lo, v11, v13
	v_lshl_or_b32 v13, v10, 12, v4
	v_cndmask_b32_e64 v11, 0, 1, vcc_lo
	v_cmp_ne_u32_e32 vcc_lo, v6, v14
	v_lshl_or_b32 v14, v12, 12, v8
	v_or_b32_e32 v11, v15, v11
	v_cndmask_b32_e64 v6, 0, 1, vcc_lo
	v_cmp_gt_i32_e32 vcc_lo, 1, v10
	v_or_b32_e32 v6, v16, v6
	v_cndmask_b32_e32 v11, v13, v11, vcc_lo
	v_cmp_gt_i32_e32 vcc_lo, 1, v12
	v_and_b32_e32 v13, 7, v11
	v_cndmask_b32_e32 v6, v14, v6, vcc_lo
	v_cmp_ne_u32_e32 vcc_lo, 0, v4
	v_lshrrev_b32_e32 v11, 2, v11
	v_cmp_eq_u32_e64 s0, 3, v13
	v_and_b32_e32 v14, 7, v6
	v_cndmask_b32_e64 v4, 0, 1, vcc_lo
	v_cmp_ne_u32_e32 vcc_lo, 0, v8
	v_lshrrev_b32_e32 v6, 2, v6
	v_cmp_lt_i32_e64 s1, 5, v14
	v_cmp_eq_u32_e64 s2, 3, v14
	v_cndmask_b32_e64 v8, 0, 1, vcc_lo
	v_cmp_lt_i32_e32 vcc_lo, 5, v13
	v_lshl_or_b32 v4, v4, 9, 0x7c00
	v_lshl_or_b32 v8, v8, 9, 0x7c00
	s_or_b32 vcc_lo, s0, vcc_lo
	v_add_co_ci_u32_e32 v11, vcc_lo, 0, v11, vcc_lo
	s_or_b32 vcc_lo, s2, s1
	v_add_co_ci_u32_e32 v6, vcc_lo, 0, v6, vcc_lo
	v_cmp_gt_i32_e32 vcc_lo, 31, v10
	v_cndmask_b32_e32 v11, 0x7c00, v11, vcc_lo
	v_cmp_gt_i32_e32 vcc_lo, 31, v12
	v_cndmask_b32_e32 v6, 0x7c00, v6, vcc_lo
	v_cmp_eq_u32_e32 vcc_lo, 0x40f, v10
	v_cndmask_b32_e32 v4, v11, v4, vcc_lo
	v_cmp_eq_u32_e32 vcc_lo, 0x40f, v12
	v_and_or_b32 v4, 0x8000, v7, v4
	v_cndmask_b32_e32 v6, v6, v8, vcc_lo
	v_add_co_u32 v2, vcc_lo, v2, s6
	v_add_co_ci_u32_e32 v3, vcc_lo, s3, v3, vcc_lo
	v_and_or_b32 v6, 0x8000, v9, v6
	v_and_b32_e32 v4, 0xffff, v4
	v_lshl_or_b32 v4, v6, 16, v4
	v_lshrrev_b32_e32 v6, 16, v5
	global_store_dword v[2:3], v4, off
	global_load_dword v4, v24, s[12:13] offset:112
	s_waitcnt vmcnt(0)
	v_mul_f16_sdwa v7, v6, v4 dst_sel:DWORD dst_unused:UNUSED_PAD src0_sel:DWORD src1_sel:WORD_1
	v_mul_f16_sdwa v8, v5, v4 dst_sel:DWORD dst_unused:UNUSED_PAD src0_sel:DWORD src1_sel:WORD_1
	v_fmac_f16_e32 v7, v5, v4
	v_fma_f16 v4, v4, v6, -v8
	v_cvt_f32_f16_e32 v5, v7
	v_cvt_f32_f16_e32 v6, v4
	v_cvt_f64_f32_e32 v[4:5], v5
	v_cvt_f64_f32_e32 v[6:7], v6
	v_mul_f64 v[4:5], v[4:5], s[8:9]
	v_mul_f64 v[6:7], v[6:7], s[8:9]
	v_and_or_b32 v4, 0x1ff, v5, v4
	v_and_or_b32 v6, 0x1ff, v7, v6
	v_lshrrev_b32_e32 v8, 8, v5
	v_bfe_u32 v9, v5, 20, 11
	v_lshrrev_b32_e32 v10, 8, v7
	v_cmp_ne_u32_e32 vcc_lo, 0, v4
	v_bfe_u32 v11, v7, 20, 11
	v_lshrrev_b32_e32 v5, 16, v5
	v_sub_nc_u32_e32 v12, 0x3f1, v9
	v_add_nc_u32_e32 v9, 0xfffffc10, v9
	v_cndmask_b32_e64 v4, 0, 1, vcc_lo
	v_cmp_ne_u32_e32 vcc_lo, 0, v6
	v_lshrrev_b32_e32 v7, 16, v7
	v_and_or_b32 v4, 0xffe, v8, v4
	v_cndmask_b32_e64 v6, 0, 1, vcc_lo
	v_sub_nc_u32_e32 v8, 0x3f1, v11
	v_add_nc_u32_e32 v11, 0xfffffc10, v11
	v_and_or_b32 v6, 0xffe, v10, v6
	v_med3_i32 v10, v12, 0, 13
	v_or_b32_e32 v12, 0x1000, v4
	v_med3_i32 v8, v8, 0, 13
	v_or_b32_e32 v13, 0x1000, v6
	v_lshrrev_b32_e32 v14, v10, v12
	v_lshrrev_b32_e32 v15, v8, v13
	v_lshlrev_b32_e32 v10, v10, v14
	v_lshlrev_b32_e32 v8, v8, v15
	v_cmp_ne_u32_e32 vcc_lo, v10, v12
	v_lshl_or_b32 v12, v9, 12, v4
	v_cndmask_b32_e64 v10, 0, 1, vcc_lo
	v_cmp_ne_u32_e32 vcc_lo, v8, v13
	v_lshl_or_b32 v13, v11, 12, v6
	v_or_b32_e32 v10, v14, v10
	v_cndmask_b32_e64 v8, 0, 1, vcc_lo
	v_cmp_gt_i32_e32 vcc_lo, 1, v9
	v_or_b32_e32 v8, v15, v8
	v_cndmask_b32_e32 v10, v12, v10, vcc_lo
	v_cmp_gt_i32_e32 vcc_lo, 1, v11
	v_and_b32_e32 v12, 7, v10
	v_cndmask_b32_e32 v8, v13, v8, vcc_lo
	v_cmp_ne_u32_e32 vcc_lo, 0, v4
	v_lshrrev_b32_e32 v10, 2, v10
	v_cmp_eq_u32_e64 s0, 3, v12
	v_and_b32_e32 v13, 7, v8
	v_cndmask_b32_e64 v4, 0, 1, vcc_lo
	v_cmp_ne_u32_e32 vcc_lo, 0, v6
	v_lshrrev_b32_e32 v8, 2, v8
	v_cmp_lt_i32_e64 s1, 5, v13
	v_cmp_eq_u32_e64 s2, 3, v13
	v_cndmask_b32_e64 v6, 0, 1, vcc_lo
	v_cmp_lt_i32_e32 vcc_lo, 5, v12
	v_lshl_or_b32 v4, v4, 9, 0x7c00
	v_lshl_or_b32 v6, v6, 9, 0x7c00
	s_or_b32 vcc_lo, s0, vcc_lo
	v_add_co_ci_u32_e32 v10, vcc_lo, 0, v10, vcc_lo
	s_or_b32 vcc_lo, s2, s1
	v_add_co_ci_u32_e32 v8, vcc_lo, 0, v8, vcc_lo
	v_cmp_gt_i32_e32 vcc_lo, 31, v9
	v_cndmask_b32_e32 v10, 0x7c00, v10, vcc_lo
	v_cmp_gt_i32_e32 vcc_lo, 31, v11
	v_cndmask_b32_e32 v8, 0x7c00, v8, vcc_lo
	v_cmp_eq_u32_e32 vcc_lo, 0x40f, v9
	v_cndmask_b32_e32 v4, v10, v4, vcc_lo
	v_cmp_eq_u32_e32 vcc_lo, 0x40f, v11
	v_and_or_b32 v4, 0x8000, v5, v4
	v_cndmask_b32_e32 v6, v8, v6, vcc_lo
	v_add_co_u32 v2, vcc_lo, v2, s6
	v_add_co_ci_u32_e32 v3, vcc_lo, s3, v3, vcc_lo
	v_and_or_b32 v5, 0x8000, v7, v6
	v_and_b32_e32 v4, 0xffff, v4
	v_lshl_or_b32 v4, v5, 16, v4
	global_store_dword v[2:3], v4, off
	global_load_dword v6, v24, s[12:13] offset:140
	ds_read2_b32 v[4:5], v21 offset0:35 offset1:42
	s_waitcnt lgkmcnt(0)
	v_lshrrev_b32_e32 v7, 16, v4
	s_waitcnt vmcnt(0)
	v_mul_f16_sdwa v8, v7, v6 dst_sel:DWORD dst_unused:UNUSED_PAD src0_sel:DWORD src1_sel:WORD_1
	v_mul_f16_sdwa v9, v4, v6 dst_sel:DWORD dst_unused:UNUSED_PAD src0_sel:DWORD src1_sel:WORD_1
	v_fmac_f16_e32 v8, v4, v6
	v_fma_f16 v4, v6, v7, -v9
	v_cvt_f32_f16_e32 v6, v8
	v_cvt_f32_f16_e32 v4, v4
	v_cvt_f64_f32_e32 v[6:7], v6
	v_cvt_f64_f32_e32 v[8:9], v4
	v_mul_f64 v[6:7], v[6:7], s[8:9]
	v_mul_f64 v[8:9], v[8:9], s[8:9]
	v_and_or_b32 v4, 0x1ff, v7, v6
	v_and_or_b32 v8, 0x1ff, v9, v8
	v_lshrrev_b32_e32 v6, 8, v7
	v_bfe_u32 v10, v7, 20, 11
	v_lshrrev_b32_e32 v11, 8, v9
	v_cmp_ne_u32_e32 vcc_lo, 0, v4
	v_bfe_u32 v12, v9, 20, 11
	v_lshrrev_b32_e32 v7, 16, v7
	v_sub_nc_u32_e32 v13, 0x3f1, v10
	v_add_nc_u32_e32 v10, 0xfffffc10, v10
	v_cndmask_b32_e64 v4, 0, 1, vcc_lo
	v_cmp_ne_u32_e32 vcc_lo, 0, v8
	v_lshrrev_b32_e32 v9, 16, v9
	v_and_or_b32 v4, 0xffe, v6, v4
	v_cndmask_b32_e64 v8, 0, 1, vcc_lo
	v_sub_nc_u32_e32 v6, 0x3f1, v12
	v_add_nc_u32_e32 v12, 0xfffffc10, v12
	v_and_or_b32 v8, 0xffe, v11, v8
	v_med3_i32 v11, v13, 0, 13
	v_or_b32_e32 v13, 0x1000, v4
	v_med3_i32 v6, v6, 0, 13
	v_or_b32_e32 v14, 0x1000, v8
	v_lshrrev_b32_e32 v15, v11, v13
	v_lshrrev_b32_e32 v16, v6, v14
	v_lshlrev_b32_e32 v11, v11, v15
	v_lshlrev_b32_e32 v6, v6, v16
	v_cmp_ne_u32_e32 vcc_lo, v11, v13
	v_lshl_or_b32 v13, v10, 12, v4
	v_cndmask_b32_e64 v11, 0, 1, vcc_lo
	v_cmp_ne_u32_e32 vcc_lo, v6, v14
	v_lshl_or_b32 v14, v12, 12, v8
	v_or_b32_e32 v11, v15, v11
	v_cndmask_b32_e64 v6, 0, 1, vcc_lo
	v_cmp_gt_i32_e32 vcc_lo, 1, v10
	v_or_b32_e32 v6, v16, v6
	v_cndmask_b32_e32 v11, v13, v11, vcc_lo
	v_cmp_gt_i32_e32 vcc_lo, 1, v12
	v_and_b32_e32 v13, 7, v11
	v_cndmask_b32_e32 v6, v14, v6, vcc_lo
	v_cmp_ne_u32_e32 vcc_lo, 0, v4
	v_lshrrev_b32_e32 v11, 2, v11
	v_cmp_eq_u32_e64 s0, 3, v13
	v_and_b32_e32 v14, 7, v6
	v_cndmask_b32_e64 v4, 0, 1, vcc_lo
	v_cmp_ne_u32_e32 vcc_lo, 0, v8
	v_lshrrev_b32_e32 v6, 2, v6
	v_cmp_lt_i32_e64 s1, 5, v14
	v_cmp_eq_u32_e64 s2, 3, v14
	v_cndmask_b32_e64 v8, 0, 1, vcc_lo
	v_cmp_lt_i32_e32 vcc_lo, 5, v13
	v_lshl_or_b32 v4, v4, 9, 0x7c00
	v_lshl_or_b32 v8, v8, 9, 0x7c00
	s_or_b32 vcc_lo, s0, vcc_lo
	v_add_co_ci_u32_e32 v11, vcc_lo, 0, v11, vcc_lo
	s_or_b32 vcc_lo, s2, s1
	v_add_co_ci_u32_e32 v6, vcc_lo, 0, v6, vcc_lo
	v_cmp_gt_i32_e32 vcc_lo, 31, v10
	v_cndmask_b32_e32 v11, 0x7c00, v11, vcc_lo
	v_cmp_gt_i32_e32 vcc_lo, 31, v12
	v_cndmask_b32_e32 v6, 0x7c00, v6, vcc_lo
	v_cmp_eq_u32_e32 vcc_lo, 0x40f, v10
	v_cndmask_b32_e32 v4, v11, v4, vcc_lo
	v_cmp_eq_u32_e32 vcc_lo, 0x40f, v12
	v_and_or_b32 v4, 0x8000, v7, v4
	v_cndmask_b32_e32 v6, v6, v8, vcc_lo
	v_add_co_u32 v2, vcc_lo, v2, s6
	v_add_co_ci_u32_e32 v3, vcc_lo, s3, v3, vcc_lo
	v_and_or_b32 v6, 0x8000, v9, v6
	v_and_b32_e32 v4, 0xffff, v4
	v_lshl_or_b32 v4, v6, 16, v4
	v_lshrrev_b32_e32 v6, 16, v5
	global_store_dword v[2:3], v4, off
	global_load_dword v4, v24, s[12:13] offset:168
	s_waitcnt vmcnt(0)
	v_mul_f16_sdwa v7, v6, v4 dst_sel:DWORD dst_unused:UNUSED_PAD src0_sel:DWORD src1_sel:WORD_1
	v_mul_f16_sdwa v8, v5, v4 dst_sel:DWORD dst_unused:UNUSED_PAD src0_sel:DWORD src1_sel:WORD_1
	v_fmac_f16_e32 v7, v5, v4
	v_fma_f16 v4, v4, v6, -v8
	v_cvt_f32_f16_e32 v5, v7
	v_cvt_f32_f16_e32 v6, v4
	v_cvt_f64_f32_e32 v[4:5], v5
	v_cvt_f64_f32_e32 v[6:7], v6
	v_mul_f64 v[4:5], v[4:5], s[8:9]
	v_mul_f64 v[6:7], v[6:7], s[8:9]
	v_and_or_b32 v4, 0x1ff, v5, v4
	v_and_or_b32 v6, 0x1ff, v7, v6
	v_lshrrev_b32_e32 v8, 8, v5
	v_bfe_u32 v9, v5, 20, 11
	v_lshrrev_b32_e32 v10, 8, v7
	v_cmp_ne_u32_e32 vcc_lo, 0, v4
	v_bfe_u32 v11, v7, 20, 11
	v_lshrrev_b32_e32 v5, 16, v5
	v_sub_nc_u32_e32 v12, 0x3f1, v9
	v_add_nc_u32_e32 v9, 0xfffffc10, v9
	v_cndmask_b32_e64 v4, 0, 1, vcc_lo
	v_cmp_ne_u32_e32 vcc_lo, 0, v6
	v_lshrrev_b32_e32 v7, 16, v7
	v_and_or_b32 v4, 0xffe, v8, v4
	v_cndmask_b32_e64 v6, 0, 1, vcc_lo
	v_sub_nc_u32_e32 v8, 0x3f1, v11
	v_add_nc_u32_e32 v11, 0xfffffc10, v11
	v_and_or_b32 v6, 0xffe, v10, v6
	v_med3_i32 v10, v12, 0, 13
	v_or_b32_e32 v12, 0x1000, v4
	v_med3_i32 v8, v8, 0, 13
	v_or_b32_e32 v13, 0x1000, v6
	v_lshrrev_b32_e32 v14, v10, v12
	v_lshrrev_b32_e32 v15, v8, v13
	v_lshlrev_b32_e32 v10, v10, v14
	v_lshlrev_b32_e32 v8, v8, v15
	v_cmp_ne_u32_e32 vcc_lo, v10, v12
	v_lshl_or_b32 v12, v9, 12, v4
	v_cndmask_b32_e64 v10, 0, 1, vcc_lo
	v_cmp_ne_u32_e32 vcc_lo, v8, v13
	v_lshl_or_b32 v13, v11, 12, v6
	v_or_b32_e32 v10, v14, v10
	v_cndmask_b32_e64 v8, 0, 1, vcc_lo
	v_cmp_gt_i32_e32 vcc_lo, 1, v9
	v_or_b32_e32 v8, v15, v8
	v_cndmask_b32_e32 v10, v12, v10, vcc_lo
	v_cmp_gt_i32_e32 vcc_lo, 1, v11
	v_and_b32_e32 v12, 7, v10
	v_cndmask_b32_e32 v8, v13, v8, vcc_lo
	v_cmp_ne_u32_e32 vcc_lo, 0, v4
	v_lshrrev_b32_e32 v10, 2, v10
	v_cmp_eq_u32_e64 s0, 3, v12
	v_and_b32_e32 v13, 7, v8
	v_cndmask_b32_e64 v4, 0, 1, vcc_lo
	v_cmp_ne_u32_e32 vcc_lo, 0, v6
	v_lshrrev_b32_e32 v8, 2, v8
	v_cmp_lt_i32_e64 s1, 5, v13
	v_cmp_eq_u32_e64 s2, 3, v13
	v_cndmask_b32_e64 v6, 0, 1, vcc_lo
	v_cmp_lt_i32_e32 vcc_lo, 5, v12
	v_lshl_or_b32 v4, v4, 9, 0x7c00
	v_lshl_or_b32 v6, v6, 9, 0x7c00
	s_or_b32 vcc_lo, s0, vcc_lo
	v_add_co_ci_u32_e32 v10, vcc_lo, 0, v10, vcc_lo
	s_or_b32 vcc_lo, s2, s1
	v_add_co_ci_u32_e32 v8, vcc_lo, 0, v8, vcc_lo
	v_cmp_gt_i32_e32 vcc_lo, 31, v9
	v_cndmask_b32_e32 v10, 0x7c00, v10, vcc_lo
	v_cmp_gt_i32_e32 vcc_lo, 31, v11
	v_cndmask_b32_e32 v8, 0x7c00, v8, vcc_lo
	v_cmp_eq_u32_e32 vcc_lo, 0x40f, v9
	v_cndmask_b32_e32 v4, v10, v4, vcc_lo
	v_cmp_eq_u32_e32 vcc_lo, 0x40f, v11
	v_and_or_b32 v4, 0x8000, v5, v4
	v_cndmask_b32_e32 v6, v8, v6, vcc_lo
	v_add_co_u32 v2, vcc_lo, v2, s6
	v_add_co_ci_u32_e32 v3, vcc_lo, s3, v3, vcc_lo
	v_and_or_b32 v5, 0x8000, v7, v6
	v_and_b32_e32 v4, 0xffff, v4
	v_lshl_or_b32 v4, v5, 16, v4
	global_store_dword v[2:3], v4, off
	global_load_dword v6, v24, s[12:13] offset:196
	ds_read2_b32 v[4:5], v21 offset0:49 offset1:56
	s_waitcnt lgkmcnt(0)
	v_lshrrev_b32_e32 v7, 16, v4
	s_waitcnt vmcnt(0)
	v_mul_f16_sdwa v8, v7, v6 dst_sel:DWORD dst_unused:UNUSED_PAD src0_sel:DWORD src1_sel:WORD_1
	v_mul_f16_sdwa v9, v4, v6 dst_sel:DWORD dst_unused:UNUSED_PAD src0_sel:DWORD src1_sel:WORD_1
	v_fmac_f16_e32 v8, v4, v6
	v_fma_f16 v4, v6, v7, -v9
	v_cvt_f32_f16_e32 v6, v8
	v_cvt_f32_f16_e32 v4, v4
	v_cvt_f64_f32_e32 v[6:7], v6
	v_cvt_f64_f32_e32 v[8:9], v4
	v_mul_f64 v[6:7], v[6:7], s[8:9]
	v_mul_f64 v[8:9], v[8:9], s[8:9]
	v_and_or_b32 v4, 0x1ff, v7, v6
	v_and_or_b32 v8, 0x1ff, v9, v8
	v_lshrrev_b32_e32 v6, 8, v7
	v_bfe_u32 v10, v7, 20, 11
	v_lshrrev_b32_e32 v11, 8, v9
	v_cmp_ne_u32_e32 vcc_lo, 0, v4
	v_bfe_u32 v12, v9, 20, 11
	v_lshrrev_b32_e32 v7, 16, v7
	v_sub_nc_u32_e32 v13, 0x3f1, v10
	v_add_nc_u32_e32 v10, 0xfffffc10, v10
	v_cndmask_b32_e64 v4, 0, 1, vcc_lo
	v_cmp_ne_u32_e32 vcc_lo, 0, v8
	v_lshrrev_b32_e32 v9, 16, v9
	v_and_or_b32 v4, 0xffe, v6, v4
	v_cndmask_b32_e64 v8, 0, 1, vcc_lo
	v_sub_nc_u32_e32 v6, 0x3f1, v12
	v_add_nc_u32_e32 v12, 0xfffffc10, v12
	v_and_or_b32 v8, 0xffe, v11, v8
	v_med3_i32 v11, v13, 0, 13
	v_or_b32_e32 v13, 0x1000, v4
	v_med3_i32 v6, v6, 0, 13
	v_or_b32_e32 v14, 0x1000, v8
	v_lshrrev_b32_e32 v15, v11, v13
	v_lshrrev_b32_e32 v16, v6, v14
	v_lshlrev_b32_e32 v11, v11, v15
	v_lshlrev_b32_e32 v6, v6, v16
	v_cmp_ne_u32_e32 vcc_lo, v11, v13
	v_lshl_or_b32 v13, v10, 12, v4
	v_cndmask_b32_e64 v11, 0, 1, vcc_lo
	v_cmp_ne_u32_e32 vcc_lo, v6, v14
	v_lshl_or_b32 v14, v12, 12, v8
	v_or_b32_e32 v11, v15, v11
	v_cndmask_b32_e64 v6, 0, 1, vcc_lo
	v_cmp_gt_i32_e32 vcc_lo, 1, v10
	v_or_b32_e32 v6, v16, v6
	v_cndmask_b32_e32 v11, v13, v11, vcc_lo
	v_cmp_gt_i32_e32 vcc_lo, 1, v12
	v_and_b32_e32 v13, 7, v11
	v_cndmask_b32_e32 v6, v14, v6, vcc_lo
	v_cmp_ne_u32_e32 vcc_lo, 0, v4
	v_lshrrev_b32_e32 v11, 2, v11
	v_cmp_eq_u32_e64 s0, 3, v13
	v_and_b32_e32 v14, 7, v6
	v_cndmask_b32_e64 v4, 0, 1, vcc_lo
	v_cmp_ne_u32_e32 vcc_lo, 0, v8
	v_lshrrev_b32_e32 v6, 2, v6
	v_cmp_lt_i32_e64 s1, 5, v14
	v_cmp_eq_u32_e64 s2, 3, v14
	v_cndmask_b32_e64 v8, 0, 1, vcc_lo
	v_cmp_lt_i32_e32 vcc_lo, 5, v13
	v_lshl_or_b32 v4, v4, 9, 0x7c00
	v_lshl_or_b32 v8, v8, 9, 0x7c00
	s_or_b32 vcc_lo, s0, vcc_lo
	v_add_co_ci_u32_e32 v11, vcc_lo, 0, v11, vcc_lo
	s_or_b32 vcc_lo, s2, s1
	v_add_co_ci_u32_e32 v6, vcc_lo, 0, v6, vcc_lo
	v_cmp_gt_i32_e32 vcc_lo, 31, v10
	v_cndmask_b32_e32 v11, 0x7c00, v11, vcc_lo
	v_cmp_gt_i32_e32 vcc_lo, 31, v12
	v_cndmask_b32_e32 v6, 0x7c00, v6, vcc_lo
	v_cmp_eq_u32_e32 vcc_lo, 0x40f, v10
	v_cndmask_b32_e32 v4, v11, v4, vcc_lo
	v_cmp_eq_u32_e32 vcc_lo, 0x40f, v12
	v_and_or_b32 v4, 0x8000, v7, v4
	v_cndmask_b32_e32 v6, v6, v8, vcc_lo
	v_add_co_u32 v2, vcc_lo, v2, s6
	v_add_co_ci_u32_e32 v3, vcc_lo, s3, v3, vcc_lo
	v_and_or_b32 v6, 0x8000, v9, v6
	v_and_b32_e32 v4, 0xffff, v4
	v_lshl_or_b32 v4, v6, 16, v4
	v_lshrrev_b32_e32 v6, 16, v5
	global_store_dword v[2:3], v4, off
	global_load_dword v4, v24, s[12:13] offset:224
	v_mad_u64_u32 v[2:3], null, s4, 56, v[2:3]
	s_waitcnt vmcnt(0)
	v_mul_f16_sdwa v7, v6, v4 dst_sel:DWORD dst_unused:UNUSED_PAD src0_sel:DWORD src1_sel:WORD_1
	v_mul_f16_sdwa v8, v5, v4 dst_sel:DWORD dst_unused:UNUSED_PAD src0_sel:DWORD src1_sel:WORD_1
	v_fmac_f16_e32 v7, v5, v4
	v_fma_f16 v4, v4, v6, -v8
	v_cvt_f32_f16_e32 v5, v7
	v_cvt_f32_f16_e32 v6, v4
	v_cvt_f64_f32_e32 v[4:5], v5
	v_cvt_f64_f32_e32 v[6:7], v6
	v_mul_f64 v[4:5], v[4:5], s[8:9]
	v_mul_f64 v[6:7], v[6:7], s[8:9]
	v_and_or_b32 v4, 0x1ff, v5, v4
	v_and_or_b32 v6, 0x1ff, v7, v6
	v_lshrrev_b32_e32 v8, 8, v5
	v_bfe_u32 v10, v5, 20, 11
	v_bfe_u32 v11, v7, 20, 11
	v_cmp_ne_u32_e32 vcc_lo, 0, v4
	v_lshrrev_b32_e32 v9, 8, v7
	v_lshrrev_b32_e32 v7, 16, v7
	v_sub_nc_u32_e32 v12, 0x3f1, v10
	v_sub_nc_u32_e32 v13, 0x3f1, v11
	v_cndmask_b32_e64 v4, 0, 1, vcc_lo
	v_cmp_ne_u32_e32 vcc_lo, 0, v6
	v_add_nc_u32_e32 v11, 0xfffffc10, v11
	v_and_or_b32 v14, 0xffe, v8, v4
	v_cndmask_b32_e64 v6, 0, 1, vcc_lo
	v_med3_i32 v4, v12, 0, 13
	v_med3_i32 v12, v13, 0, 13
	v_or_b32_e32 v13, 0x1000, v14
	v_and_or_b32 v6, 0xffe, v9, v6
	v_mad_u64_u32 v[8:9], null, s4, v25, 0
	v_lshrrev_b32_e32 v16, v4, v13
	v_or_b32_e32 v15, 0x1000, v6
	v_lshlrev_b32_e32 v18, v4, v16
	v_lshrrev_b32_e32 v17, v12, v15
	v_mov_b32_e32 v4, v9
	v_cmp_ne_u32_e32 vcc_lo, v18, v13
	v_lshlrev_b32_e32 v9, v12, v17
	v_add_nc_u32_e32 v12, 0xfffffc10, v10
	v_cndmask_b32_e64 v13, 0, 1, vcc_lo
	v_cmp_ne_u32_e32 vcc_lo, v9, v15
	v_mad_u64_u32 v[9:10], null, s5, v25, v[4:5]
	v_lshl_or_b32 v4, v12, 12, v14
	v_or_b32_e32 v10, v16, v13
	v_cndmask_b32_e64 v15, 0, 1, vcc_lo
	v_cmp_gt_i32_e32 vcc_lo, 1, v12
	v_lshl_or_b32 v13, v11, 12, v6
	v_lshrrev_b32_e32 v5, 16, v5
	v_or_b32_e32 v15, v17, v15
	v_cndmask_b32_e32 v4, v4, v10, vcc_lo
	v_cmp_gt_i32_e32 vcc_lo, 1, v11
	v_cndmask_b32_e32 v10, v13, v15, vcc_lo
	v_cmp_ne_u32_e32 vcc_lo, 0, v14
	v_and_b32_e32 v14, 7, v4
	v_lshrrev_b32_e32 v4, 2, v4
	v_and_b32_e32 v15, 7, v10
	v_cndmask_b32_e64 v13, 0, 1, vcc_lo
	v_cmp_ne_u32_e32 vcc_lo, 0, v6
	v_cmp_eq_u32_e64 s0, 3, v14
	v_lshrrev_b32_e32 v10, 2, v10
	v_cmp_lt_i32_e64 s1, 5, v15
	v_cmp_eq_u32_e64 s2, 3, v15
	v_cndmask_b32_e64 v6, 0, 1, vcc_lo
	v_cmp_lt_i32_e32 vcc_lo, 5, v14
	v_lshl_or_b32 v13, v13, 9, 0x7c00
	v_lshl_or_b32 v6, v6, 9, 0x7c00
	s_or_b32 vcc_lo, s0, vcc_lo
	v_add_co_ci_u32_e32 v4, vcc_lo, 0, v4, vcc_lo
	s_or_b32 vcc_lo, s2, s1
	v_add_co_ci_u32_e32 v10, vcc_lo, 0, v10, vcc_lo
	v_cmp_gt_i32_e32 vcc_lo, 31, v12
	v_cndmask_b32_e32 v4, 0x7c00, v4, vcc_lo
	v_cmp_gt_i32_e32 vcc_lo, 31, v11
	v_cndmask_b32_e32 v10, 0x7c00, v10, vcc_lo
	v_cmp_eq_u32_e32 vcc_lo, 0x40f, v12
	v_cndmask_b32_e32 v4, v4, v13, vcc_lo
	v_cmp_eq_u32_e32 vcc_lo, 0x40f, v11
	v_cndmask_b32_e32 v6, v10, v6, vcc_lo
	v_and_or_b32 v10, 0x8000, v5, v4
	v_lshlrev_b64 v[4:5], 2, v[8:9]
	v_and_or_b32 v6, 0x8000, v7, v6
	v_and_b32_e32 v7, 0xffff, v10
	v_add_co_u32 v4, vcc_lo, v0, v4
	v_add_co_ci_u32_e32 v5, vcc_lo, v1, v5, vcc_lo
	v_lshl_or_b32 v6, v6, 16, v7
	global_store_dword v[4:5], v6, off
	global_load_dword v6, v24, s[12:13] offset:252
	ds_read2_b32 v[4:5], v21 offset0:63 offset1:70
	s_waitcnt lgkmcnt(0)
	v_lshrrev_b32_e32 v7, 16, v4
	s_waitcnt vmcnt(0)
	v_mul_f16_sdwa v8, v7, v6 dst_sel:DWORD dst_unused:UNUSED_PAD src0_sel:DWORD src1_sel:WORD_1
	v_mul_f16_sdwa v9, v4, v6 dst_sel:DWORD dst_unused:UNUSED_PAD src0_sel:DWORD src1_sel:WORD_1
	v_fmac_f16_e32 v8, v4, v6
	v_fma_f16 v4, v6, v7, -v9
	v_cvt_f32_f16_e32 v6, v8
	v_cvt_f32_f16_e32 v4, v4
	v_cvt_f64_f32_e32 v[6:7], v6
	v_cvt_f64_f32_e32 v[8:9], v4
	v_mul_f64 v[6:7], v[6:7], s[8:9]
	v_mul_f64 v[8:9], v[8:9], s[8:9]
	v_and_or_b32 v4, 0x1ff, v7, v6
	v_and_or_b32 v8, 0x1ff, v9, v8
	v_lshrrev_b32_e32 v6, 8, v7
	v_bfe_u32 v10, v7, 20, 11
	v_lshrrev_b32_e32 v11, 8, v9
	v_cmp_ne_u32_e32 vcc_lo, 0, v4
	v_bfe_u32 v12, v9, 20, 11
	v_lshrrev_b32_e32 v7, 16, v7
	v_sub_nc_u32_e32 v13, 0x3f1, v10
	v_add_nc_u32_e32 v10, 0xfffffc10, v10
	v_cndmask_b32_e64 v4, 0, 1, vcc_lo
	v_cmp_ne_u32_e32 vcc_lo, 0, v8
	v_lshrrev_b32_e32 v9, 16, v9
	v_and_or_b32 v4, 0xffe, v6, v4
	v_cndmask_b32_e64 v8, 0, 1, vcc_lo
	v_sub_nc_u32_e32 v6, 0x3f1, v12
	v_add_nc_u32_e32 v12, 0xfffffc10, v12
	v_and_or_b32 v8, 0xffe, v11, v8
	v_med3_i32 v11, v13, 0, 13
	v_or_b32_e32 v13, 0x1000, v4
	v_med3_i32 v6, v6, 0, 13
	v_or_b32_e32 v14, 0x1000, v8
	v_lshrrev_b32_e32 v15, v11, v13
	v_lshrrev_b32_e32 v16, v6, v14
	v_lshlrev_b32_e32 v11, v11, v15
	v_lshlrev_b32_e32 v6, v6, v16
	v_cmp_ne_u32_e32 vcc_lo, v11, v13
	v_lshl_or_b32 v13, v10, 12, v4
	v_cndmask_b32_e64 v11, 0, 1, vcc_lo
	v_cmp_ne_u32_e32 vcc_lo, v6, v14
	v_lshl_or_b32 v14, v12, 12, v8
	v_or_b32_e32 v11, v15, v11
	v_cndmask_b32_e64 v6, 0, 1, vcc_lo
	v_cmp_gt_i32_e32 vcc_lo, 1, v10
	v_or_b32_e32 v6, v16, v6
	v_cndmask_b32_e32 v11, v13, v11, vcc_lo
	v_cmp_gt_i32_e32 vcc_lo, 1, v12
	v_and_b32_e32 v13, 7, v11
	v_cndmask_b32_e32 v6, v14, v6, vcc_lo
	v_cmp_ne_u32_e32 vcc_lo, 0, v4
	v_lshrrev_b32_e32 v11, 2, v11
	v_cmp_eq_u32_e64 s0, 3, v13
	v_and_b32_e32 v14, 7, v6
	v_cndmask_b32_e64 v4, 0, 1, vcc_lo
	v_cmp_ne_u32_e32 vcc_lo, 0, v8
	v_lshrrev_b32_e32 v6, 2, v6
	v_cmp_lt_i32_e64 s1, 5, v14
	v_cmp_eq_u32_e64 s2, 3, v14
	v_cndmask_b32_e64 v8, 0, 1, vcc_lo
	v_cmp_lt_i32_e32 vcc_lo, 5, v13
	v_lshl_or_b32 v4, v4, 9, 0x7c00
	v_lshl_or_b32 v8, v8, 9, 0x7c00
	s_or_b32 vcc_lo, s0, vcc_lo
	v_add_co_ci_u32_e32 v11, vcc_lo, 0, v11, vcc_lo
	s_or_b32 vcc_lo, s2, s1
	v_add_co_ci_u32_e32 v6, vcc_lo, 0, v6, vcc_lo
	v_cmp_gt_i32_e32 vcc_lo, 31, v10
	v_cndmask_b32_e32 v11, 0x7c00, v11, vcc_lo
	v_cmp_gt_i32_e32 vcc_lo, 31, v12
	v_cndmask_b32_e32 v6, 0x7c00, v6, vcc_lo
	v_cmp_eq_u32_e32 vcc_lo, 0x40f, v10
	v_cndmask_b32_e32 v4, v11, v4, vcc_lo
	v_cmp_eq_u32_e32 vcc_lo, 0x40f, v12
	v_and_or_b32 v7, 0x8000, v7, v4
	v_cndmask_b32_e32 v6, v6, v8, vcc_lo
	v_mad_u64_u32 v[3:4], null, s5, 56, v[3:4]
	v_and_or_b32 v4, 0x8000, v9, v6
	v_and_b32_e32 v6, 0xffff, v7
	v_lshl_or_b32 v4, v4, 16, v6
	v_lshrrev_b32_e32 v6, 16, v5
	global_store_dword v[2:3], v4, off
	global_load_dword v4, v24, s[12:13] offset:280
	s_waitcnt vmcnt(0)
	v_mul_f16_sdwa v7, v6, v4 dst_sel:DWORD dst_unused:UNUSED_PAD src0_sel:DWORD src1_sel:WORD_1
	v_mul_f16_sdwa v8, v5, v4 dst_sel:DWORD dst_unused:UNUSED_PAD src0_sel:DWORD src1_sel:WORD_1
	v_fmac_f16_e32 v7, v5, v4
	v_fma_f16 v4, v4, v6, -v8
	v_cvt_f32_f16_e32 v5, v7
	v_cvt_f32_f16_e32 v6, v4
	v_cvt_f64_f32_e32 v[4:5], v5
	v_cvt_f64_f32_e32 v[6:7], v6
	v_mul_f64 v[4:5], v[4:5], s[8:9]
	v_mul_f64 v[6:7], v[6:7], s[8:9]
	v_and_or_b32 v4, 0x1ff, v5, v4
	v_and_or_b32 v6, 0x1ff, v7, v6
	v_lshrrev_b32_e32 v8, 8, v5
	v_bfe_u32 v9, v5, 20, 11
	v_lshrrev_b32_e32 v10, 8, v7
	v_cmp_ne_u32_e32 vcc_lo, 0, v4
	v_bfe_u32 v11, v7, 20, 11
	v_lshrrev_b32_e32 v5, 16, v5
	v_sub_nc_u32_e32 v12, 0x3f1, v9
	v_add_nc_u32_e32 v9, 0xfffffc10, v9
	v_cndmask_b32_e64 v4, 0, 1, vcc_lo
	v_cmp_ne_u32_e32 vcc_lo, 0, v6
	v_lshrrev_b32_e32 v7, 16, v7
	v_and_or_b32 v4, 0xffe, v8, v4
	v_cndmask_b32_e64 v6, 0, 1, vcc_lo
	v_sub_nc_u32_e32 v8, 0x3f1, v11
	v_add_nc_u32_e32 v11, 0xfffffc10, v11
	v_and_or_b32 v6, 0xffe, v10, v6
	v_med3_i32 v10, v12, 0, 13
	v_or_b32_e32 v12, 0x1000, v4
	v_med3_i32 v8, v8, 0, 13
	v_or_b32_e32 v13, 0x1000, v6
	v_lshrrev_b32_e32 v14, v10, v12
	v_lshrrev_b32_e32 v15, v8, v13
	v_lshlrev_b32_e32 v10, v10, v14
	v_lshlrev_b32_e32 v8, v8, v15
	v_cmp_ne_u32_e32 vcc_lo, v10, v12
	v_lshl_or_b32 v12, v9, 12, v4
	v_cndmask_b32_e64 v10, 0, 1, vcc_lo
	v_cmp_ne_u32_e32 vcc_lo, v8, v13
	v_lshl_or_b32 v13, v11, 12, v6
	v_or_b32_e32 v10, v14, v10
	v_cndmask_b32_e64 v8, 0, 1, vcc_lo
	v_cmp_gt_i32_e32 vcc_lo, 1, v9
	v_or_b32_e32 v8, v15, v8
	v_cndmask_b32_e32 v10, v12, v10, vcc_lo
	v_cmp_gt_i32_e32 vcc_lo, 1, v11
	v_and_b32_e32 v12, 7, v10
	v_cndmask_b32_e32 v8, v13, v8, vcc_lo
	v_cmp_ne_u32_e32 vcc_lo, 0, v4
	v_lshrrev_b32_e32 v10, 2, v10
	v_cmp_eq_u32_e64 s0, 3, v12
	v_and_b32_e32 v13, 7, v8
	v_cndmask_b32_e64 v4, 0, 1, vcc_lo
	v_cmp_ne_u32_e32 vcc_lo, 0, v6
	v_lshrrev_b32_e32 v8, 2, v8
	v_cmp_lt_i32_e64 s1, 5, v13
	v_cmp_eq_u32_e64 s2, 3, v13
	v_cndmask_b32_e64 v6, 0, 1, vcc_lo
	v_cmp_lt_i32_e32 vcc_lo, 5, v12
	v_lshl_or_b32 v4, v4, 9, 0x7c00
	v_lshl_or_b32 v6, v6, 9, 0x7c00
	s_or_b32 vcc_lo, s0, vcc_lo
	v_add_co_ci_u32_e32 v10, vcc_lo, 0, v10, vcc_lo
	s_or_b32 vcc_lo, s2, s1
	v_add_co_ci_u32_e32 v8, vcc_lo, 0, v8, vcc_lo
	v_cmp_gt_i32_e32 vcc_lo, 31, v9
	v_cndmask_b32_e32 v10, 0x7c00, v10, vcc_lo
	v_cmp_gt_i32_e32 vcc_lo, 31, v11
	v_cndmask_b32_e32 v8, 0x7c00, v8, vcc_lo
	v_cmp_eq_u32_e32 vcc_lo, 0x40f, v9
	v_cndmask_b32_e32 v4, v10, v4, vcc_lo
	v_cmp_eq_u32_e32 vcc_lo, 0x40f, v11
	v_and_or_b32 v4, 0x8000, v5, v4
	v_cndmask_b32_e32 v6, v8, v6, vcc_lo
	v_add_co_u32 v2, vcc_lo, v2, s6
	v_add_co_ci_u32_e32 v3, vcc_lo, s3, v3, vcc_lo
	v_and_or_b32 v5, 0x8000, v7, v6
	v_and_b32_e32 v4, 0xffff, v4
	v_lshl_or_b32 v4, v5, 16, v4
	global_store_dword v[2:3], v4, off
	global_load_dword v6, v24, s[12:13] offset:308
	ds_read2_b32 v[4:5], v21 offset0:77 offset1:84
	s_waitcnt lgkmcnt(0)
	v_lshrrev_b32_e32 v7, 16, v4
	s_waitcnt vmcnt(0)
	v_mul_f16_sdwa v8, v7, v6 dst_sel:DWORD dst_unused:UNUSED_PAD src0_sel:DWORD src1_sel:WORD_1
	v_mul_f16_sdwa v9, v4, v6 dst_sel:DWORD dst_unused:UNUSED_PAD src0_sel:DWORD src1_sel:WORD_1
	v_fmac_f16_e32 v8, v4, v6
	v_fma_f16 v4, v6, v7, -v9
	v_cvt_f32_f16_e32 v6, v8
	v_cvt_f32_f16_e32 v4, v4
	v_cvt_f64_f32_e32 v[6:7], v6
	v_cvt_f64_f32_e32 v[8:9], v4
	v_mul_f64 v[6:7], v[6:7], s[8:9]
	v_mul_f64 v[8:9], v[8:9], s[8:9]
	v_and_or_b32 v4, 0x1ff, v7, v6
	v_and_or_b32 v8, 0x1ff, v9, v8
	v_lshrrev_b32_e32 v6, 8, v7
	v_bfe_u32 v10, v7, 20, 11
	v_lshrrev_b32_e32 v11, 8, v9
	v_cmp_ne_u32_e32 vcc_lo, 0, v4
	v_bfe_u32 v12, v9, 20, 11
	v_lshrrev_b32_e32 v7, 16, v7
	v_sub_nc_u32_e32 v13, 0x3f1, v10
	v_add_nc_u32_e32 v10, 0xfffffc10, v10
	v_cndmask_b32_e64 v4, 0, 1, vcc_lo
	v_cmp_ne_u32_e32 vcc_lo, 0, v8
	v_lshrrev_b32_e32 v9, 16, v9
	v_and_or_b32 v4, 0xffe, v6, v4
	v_cndmask_b32_e64 v8, 0, 1, vcc_lo
	v_sub_nc_u32_e32 v6, 0x3f1, v12
	v_add_nc_u32_e32 v12, 0xfffffc10, v12
	v_and_or_b32 v8, 0xffe, v11, v8
	v_med3_i32 v11, v13, 0, 13
	v_or_b32_e32 v13, 0x1000, v4
	v_med3_i32 v6, v6, 0, 13
	v_or_b32_e32 v14, 0x1000, v8
	v_lshrrev_b32_e32 v15, v11, v13
	v_lshrrev_b32_e32 v16, v6, v14
	v_lshlrev_b32_e32 v11, v11, v15
	v_lshlrev_b32_e32 v6, v6, v16
	v_cmp_ne_u32_e32 vcc_lo, v11, v13
	v_lshl_or_b32 v13, v10, 12, v4
	v_cndmask_b32_e64 v11, 0, 1, vcc_lo
	v_cmp_ne_u32_e32 vcc_lo, v6, v14
	v_lshl_or_b32 v14, v12, 12, v8
	v_or_b32_e32 v11, v15, v11
	v_cndmask_b32_e64 v6, 0, 1, vcc_lo
	v_cmp_gt_i32_e32 vcc_lo, 1, v10
	v_or_b32_e32 v6, v16, v6
	v_cndmask_b32_e32 v11, v13, v11, vcc_lo
	v_cmp_gt_i32_e32 vcc_lo, 1, v12
	v_and_b32_e32 v13, 7, v11
	v_cndmask_b32_e32 v6, v14, v6, vcc_lo
	v_cmp_ne_u32_e32 vcc_lo, 0, v4
	v_lshrrev_b32_e32 v11, 2, v11
	v_cmp_eq_u32_e64 s0, 3, v13
	v_and_b32_e32 v14, 7, v6
	v_cndmask_b32_e64 v4, 0, 1, vcc_lo
	v_cmp_ne_u32_e32 vcc_lo, 0, v8
	v_lshrrev_b32_e32 v6, 2, v6
	v_cmp_lt_i32_e64 s1, 5, v14
	v_cmp_eq_u32_e64 s2, 3, v14
	v_cndmask_b32_e64 v8, 0, 1, vcc_lo
	v_cmp_lt_i32_e32 vcc_lo, 5, v13
	v_lshl_or_b32 v4, v4, 9, 0x7c00
	v_lshl_or_b32 v8, v8, 9, 0x7c00
	s_or_b32 vcc_lo, s0, vcc_lo
	v_add_co_ci_u32_e32 v11, vcc_lo, 0, v11, vcc_lo
	s_or_b32 vcc_lo, s2, s1
	v_add_co_ci_u32_e32 v6, vcc_lo, 0, v6, vcc_lo
	v_cmp_gt_i32_e32 vcc_lo, 31, v10
	v_cndmask_b32_e32 v11, 0x7c00, v11, vcc_lo
	v_cmp_gt_i32_e32 vcc_lo, 31, v12
	v_cndmask_b32_e32 v6, 0x7c00, v6, vcc_lo
	v_cmp_eq_u32_e32 vcc_lo, 0x40f, v10
	v_cndmask_b32_e32 v4, v11, v4, vcc_lo
	v_cmp_eq_u32_e32 vcc_lo, 0x40f, v12
	v_and_or_b32 v4, 0x8000, v7, v4
	v_cndmask_b32_e32 v6, v6, v8, vcc_lo
	v_add_co_u32 v2, vcc_lo, v2, s6
	v_add_co_ci_u32_e32 v3, vcc_lo, s3, v3, vcc_lo
	v_and_or_b32 v6, 0x8000, v9, v6
	v_and_b32_e32 v4, 0xffff, v4
	v_lshl_or_b32 v4, v6, 16, v4
	v_lshrrev_b32_e32 v6, 16, v5
	global_store_dword v[2:3], v4, off
	global_load_dword v4, v24, s[12:13] offset:336
	s_waitcnt vmcnt(0)
	v_mul_f16_sdwa v7, v6, v4 dst_sel:DWORD dst_unused:UNUSED_PAD src0_sel:DWORD src1_sel:WORD_1
	v_mul_f16_sdwa v8, v5, v4 dst_sel:DWORD dst_unused:UNUSED_PAD src0_sel:DWORD src1_sel:WORD_1
	v_fmac_f16_e32 v7, v5, v4
	v_fma_f16 v4, v4, v6, -v8
	v_cvt_f32_f16_e32 v5, v7
	v_cvt_f32_f16_e32 v6, v4
	v_cvt_f64_f32_e32 v[4:5], v5
	v_cvt_f64_f32_e32 v[6:7], v6
	v_mul_f64 v[4:5], v[4:5], s[8:9]
	v_mul_f64 v[6:7], v[6:7], s[8:9]
	v_and_or_b32 v4, 0x1ff, v5, v4
	v_and_or_b32 v6, 0x1ff, v7, v6
	v_lshrrev_b32_e32 v8, 8, v5
	v_bfe_u32 v9, v5, 20, 11
	v_lshrrev_b32_e32 v10, 8, v7
	v_cmp_ne_u32_e32 vcc_lo, 0, v4
	v_bfe_u32 v11, v7, 20, 11
	v_lshrrev_b32_e32 v5, 16, v5
	v_sub_nc_u32_e32 v12, 0x3f1, v9
	v_add_nc_u32_e32 v9, 0xfffffc10, v9
	v_cndmask_b32_e64 v4, 0, 1, vcc_lo
	v_cmp_ne_u32_e32 vcc_lo, 0, v6
	v_lshrrev_b32_e32 v7, 16, v7
	v_and_or_b32 v4, 0xffe, v8, v4
	v_cndmask_b32_e64 v6, 0, 1, vcc_lo
	v_sub_nc_u32_e32 v8, 0x3f1, v11
	v_add_nc_u32_e32 v11, 0xfffffc10, v11
	v_and_or_b32 v6, 0xffe, v10, v6
	v_med3_i32 v10, v12, 0, 13
	v_or_b32_e32 v12, 0x1000, v4
	v_med3_i32 v8, v8, 0, 13
	v_or_b32_e32 v13, 0x1000, v6
	v_lshrrev_b32_e32 v14, v10, v12
	v_lshrrev_b32_e32 v15, v8, v13
	v_lshlrev_b32_e32 v10, v10, v14
	v_lshlrev_b32_e32 v8, v8, v15
	v_cmp_ne_u32_e32 vcc_lo, v10, v12
	v_lshl_or_b32 v12, v9, 12, v4
	v_cndmask_b32_e64 v10, 0, 1, vcc_lo
	v_cmp_ne_u32_e32 vcc_lo, v8, v13
	v_lshl_or_b32 v13, v11, 12, v6
	v_or_b32_e32 v10, v14, v10
	v_cndmask_b32_e64 v8, 0, 1, vcc_lo
	v_cmp_gt_i32_e32 vcc_lo, 1, v9
	v_or_b32_e32 v8, v15, v8
	v_cndmask_b32_e32 v10, v12, v10, vcc_lo
	v_cmp_gt_i32_e32 vcc_lo, 1, v11
	v_and_b32_e32 v12, 7, v10
	v_cndmask_b32_e32 v8, v13, v8, vcc_lo
	v_cmp_ne_u32_e32 vcc_lo, 0, v4
	v_lshrrev_b32_e32 v10, 2, v10
	v_cmp_eq_u32_e64 s0, 3, v12
	v_and_b32_e32 v13, 7, v8
	v_cndmask_b32_e64 v4, 0, 1, vcc_lo
	v_cmp_ne_u32_e32 vcc_lo, 0, v6
	v_lshrrev_b32_e32 v8, 2, v8
	v_cmp_lt_i32_e64 s1, 5, v13
	v_cmp_eq_u32_e64 s2, 3, v13
	v_cndmask_b32_e64 v6, 0, 1, vcc_lo
	v_cmp_lt_i32_e32 vcc_lo, 5, v12
	v_lshl_or_b32 v4, v4, 9, 0x7c00
	v_lshl_or_b32 v6, v6, 9, 0x7c00
	s_or_b32 vcc_lo, s0, vcc_lo
	v_add_co_ci_u32_e32 v10, vcc_lo, 0, v10, vcc_lo
	s_or_b32 vcc_lo, s2, s1
	v_add_co_ci_u32_e32 v8, vcc_lo, 0, v8, vcc_lo
	v_cmp_gt_i32_e32 vcc_lo, 31, v9
	v_cndmask_b32_e32 v10, 0x7c00, v10, vcc_lo
	v_cmp_gt_i32_e32 vcc_lo, 31, v11
	v_cndmask_b32_e32 v8, 0x7c00, v8, vcc_lo
	v_cmp_eq_u32_e32 vcc_lo, 0x40f, v9
	v_cndmask_b32_e32 v4, v10, v4, vcc_lo
	v_cmp_eq_u32_e32 vcc_lo, 0x40f, v11
	v_and_or_b32 v4, 0x8000, v5, v4
	v_cndmask_b32_e32 v6, v8, v6, vcc_lo
	v_add_co_u32 v2, vcc_lo, v2, s6
	v_add_co_ci_u32_e32 v3, vcc_lo, s3, v3, vcc_lo
	v_and_or_b32 v5, 0x8000, v7, v6
	v_and_b32_e32 v4, 0xffff, v4
	v_lshl_or_b32 v4, v5, 16, v4
	global_store_dword v[2:3], v4, off
	global_load_dword v6, v24, s[12:13] offset:364
	ds_read2_b32 v[4:5], v21 offset0:91 offset1:98
	s_waitcnt lgkmcnt(0)
	v_lshrrev_b32_e32 v7, 16, v4
	s_waitcnt vmcnt(0)
	v_mul_f16_sdwa v8, v7, v6 dst_sel:DWORD dst_unused:UNUSED_PAD src0_sel:DWORD src1_sel:WORD_1
	v_mul_f16_sdwa v9, v4, v6 dst_sel:DWORD dst_unused:UNUSED_PAD src0_sel:DWORD src1_sel:WORD_1
	v_fmac_f16_e32 v8, v4, v6
	v_fma_f16 v4, v6, v7, -v9
	v_cvt_f32_f16_e32 v6, v8
	v_cvt_f32_f16_e32 v4, v4
	v_cvt_f64_f32_e32 v[6:7], v6
	v_cvt_f64_f32_e32 v[8:9], v4
	v_mul_f64 v[6:7], v[6:7], s[8:9]
	v_mul_f64 v[8:9], v[8:9], s[8:9]
	v_and_or_b32 v4, 0x1ff, v7, v6
	v_and_or_b32 v8, 0x1ff, v9, v8
	v_lshrrev_b32_e32 v6, 8, v7
	v_bfe_u32 v10, v7, 20, 11
	v_lshrrev_b32_e32 v11, 8, v9
	v_cmp_ne_u32_e32 vcc_lo, 0, v4
	v_bfe_u32 v12, v9, 20, 11
	v_lshrrev_b32_e32 v7, 16, v7
	v_sub_nc_u32_e32 v13, 0x3f1, v10
	v_add_nc_u32_e32 v10, 0xfffffc10, v10
	v_cndmask_b32_e64 v4, 0, 1, vcc_lo
	v_cmp_ne_u32_e32 vcc_lo, 0, v8
	v_lshrrev_b32_e32 v9, 16, v9
	v_and_or_b32 v4, 0xffe, v6, v4
	v_cndmask_b32_e64 v8, 0, 1, vcc_lo
	v_sub_nc_u32_e32 v6, 0x3f1, v12
	v_add_nc_u32_e32 v12, 0xfffffc10, v12
	v_and_or_b32 v8, 0xffe, v11, v8
	v_med3_i32 v11, v13, 0, 13
	v_or_b32_e32 v13, 0x1000, v4
	v_med3_i32 v6, v6, 0, 13
	v_or_b32_e32 v14, 0x1000, v8
	v_lshrrev_b32_e32 v15, v11, v13
	v_lshrrev_b32_e32 v16, v6, v14
	v_lshlrev_b32_e32 v11, v11, v15
	v_lshlrev_b32_e32 v6, v6, v16
	v_cmp_ne_u32_e32 vcc_lo, v11, v13
	v_lshl_or_b32 v13, v10, 12, v4
	v_cndmask_b32_e64 v11, 0, 1, vcc_lo
	v_cmp_ne_u32_e32 vcc_lo, v6, v14
	v_lshl_or_b32 v14, v12, 12, v8
	v_or_b32_e32 v11, v15, v11
	v_cndmask_b32_e64 v6, 0, 1, vcc_lo
	v_cmp_gt_i32_e32 vcc_lo, 1, v10
	v_or_b32_e32 v6, v16, v6
	v_cndmask_b32_e32 v11, v13, v11, vcc_lo
	v_cmp_gt_i32_e32 vcc_lo, 1, v12
	v_and_b32_e32 v13, 7, v11
	v_cndmask_b32_e32 v6, v14, v6, vcc_lo
	v_cmp_ne_u32_e32 vcc_lo, 0, v4
	v_lshrrev_b32_e32 v11, 2, v11
	v_cmp_eq_u32_e64 s0, 3, v13
	v_and_b32_e32 v14, 7, v6
	v_cndmask_b32_e64 v4, 0, 1, vcc_lo
	v_cmp_ne_u32_e32 vcc_lo, 0, v8
	v_lshrrev_b32_e32 v6, 2, v6
	v_cmp_lt_i32_e64 s1, 5, v14
	v_cmp_eq_u32_e64 s2, 3, v14
	v_cndmask_b32_e64 v8, 0, 1, vcc_lo
	v_cmp_lt_i32_e32 vcc_lo, 5, v13
	v_lshl_or_b32 v4, v4, 9, 0x7c00
	v_lshl_or_b32 v8, v8, 9, 0x7c00
	s_or_b32 vcc_lo, s0, vcc_lo
	v_add_co_ci_u32_e32 v11, vcc_lo, 0, v11, vcc_lo
	s_or_b32 vcc_lo, s2, s1
	v_add_co_ci_u32_e32 v6, vcc_lo, 0, v6, vcc_lo
	v_cmp_gt_i32_e32 vcc_lo, 31, v10
	v_cndmask_b32_e32 v11, 0x7c00, v11, vcc_lo
	v_cmp_gt_i32_e32 vcc_lo, 31, v12
	v_cndmask_b32_e32 v6, 0x7c00, v6, vcc_lo
	v_cmp_eq_u32_e32 vcc_lo, 0x40f, v10
	v_cndmask_b32_e32 v4, v11, v4, vcc_lo
	v_cmp_eq_u32_e32 vcc_lo, 0x40f, v12
	v_and_or_b32 v4, 0x8000, v7, v4
	v_cndmask_b32_e32 v6, v6, v8, vcc_lo
	v_add_co_u32 v2, vcc_lo, v2, s6
	v_add_co_ci_u32_e32 v3, vcc_lo, s3, v3, vcc_lo
	v_and_or_b32 v6, 0x8000, v9, v6
	v_and_b32_e32 v4, 0xffff, v4
	v_lshl_or_b32 v4, v6, 16, v4
	v_lshrrev_b32_e32 v6, 16, v5
	global_store_dword v[2:3], v4, off
	global_load_dword v4, v24, s[12:13] offset:392
	s_waitcnt vmcnt(0)
	v_mul_f16_sdwa v7, v6, v4 dst_sel:DWORD dst_unused:UNUSED_PAD src0_sel:DWORD src1_sel:WORD_1
	v_mul_f16_sdwa v8, v5, v4 dst_sel:DWORD dst_unused:UNUSED_PAD src0_sel:DWORD src1_sel:WORD_1
	v_fmac_f16_e32 v7, v5, v4
	v_fma_f16 v4, v4, v6, -v8
	v_cvt_f32_f16_e32 v5, v7
	v_cvt_f32_f16_e32 v6, v4
	v_cvt_f64_f32_e32 v[4:5], v5
	v_cvt_f64_f32_e32 v[6:7], v6
	v_mul_f64 v[4:5], v[4:5], s[8:9]
	v_mul_f64 v[6:7], v[6:7], s[8:9]
	v_and_or_b32 v4, 0x1ff, v5, v4
	v_and_or_b32 v6, 0x1ff, v7, v6
	v_lshrrev_b32_e32 v8, 8, v5
	v_bfe_u32 v9, v5, 20, 11
	v_lshrrev_b32_e32 v10, 8, v7
	v_cmp_ne_u32_e32 vcc_lo, 0, v4
	v_bfe_u32 v11, v7, 20, 11
	v_lshrrev_b32_e32 v5, 16, v5
	v_sub_nc_u32_e32 v12, 0x3f1, v9
	v_add_nc_u32_e32 v9, 0xfffffc10, v9
	v_cndmask_b32_e64 v4, 0, 1, vcc_lo
	v_cmp_ne_u32_e32 vcc_lo, 0, v6
	v_lshrrev_b32_e32 v7, 16, v7
	v_and_or_b32 v4, 0xffe, v8, v4
	v_cndmask_b32_e64 v6, 0, 1, vcc_lo
	v_sub_nc_u32_e32 v8, 0x3f1, v11
	v_add_nc_u32_e32 v11, 0xfffffc10, v11
	v_and_or_b32 v6, 0xffe, v10, v6
	v_med3_i32 v10, v12, 0, 13
	v_or_b32_e32 v12, 0x1000, v4
	v_med3_i32 v8, v8, 0, 13
	v_or_b32_e32 v13, 0x1000, v6
	v_lshrrev_b32_e32 v14, v10, v12
	v_lshrrev_b32_e32 v15, v8, v13
	v_lshlrev_b32_e32 v10, v10, v14
	v_lshlrev_b32_e32 v8, v8, v15
	v_cmp_ne_u32_e32 vcc_lo, v10, v12
	v_lshl_or_b32 v12, v9, 12, v4
	v_cndmask_b32_e64 v10, 0, 1, vcc_lo
	v_cmp_ne_u32_e32 vcc_lo, v8, v13
	v_lshl_or_b32 v13, v11, 12, v6
	v_or_b32_e32 v10, v14, v10
	v_cndmask_b32_e64 v8, 0, 1, vcc_lo
	v_cmp_gt_i32_e32 vcc_lo, 1, v9
	v_or_b32_e32 v8, v15, v8
	v_cndmask_b32_e32 v10, v12, v10, vcc_lo
	v_cmp_gt_i32_e32 vcc_lo, 1, v11
	v_and_b32_e32 v12, 7, v10
	v_cndmask_b32_e32 v8, v13, v8, vcc_lo
	v_cmp_ne_u32_e32 vcc_lo, 0, v4
	v_lshrrev_b32_e32 v10, 2, v10
	v_cmp_eq_u32_e64 s0, 3, v12
	v_and_b32_e32 v13, 7, v8
	v_cndmask_b32_e64 v4, 0, 1, vcc_lo
	v_cmp_ne_u32_e32 vcc_lo, 0, v6
	v_lshrrev_b32_e32 v8, 2, v8
	v_cmp_lt_i32_e64 s1, 5, v13
	v_cmp_eq_u32_e64 s2, 3, v13
	v_cndmask_b32_e64 v6, 0, 1, vcc_lo
	v_cmp_lt_i32_e32 vcc_lo, 5, v12
	v_lshl_or_b32 v4, v4, 9, 0x7c00
	v_lshl_or_b32 v6, v6, 9, 0x7c00
	s_or_b32 vcc_lo, s0, vcc_lo
	v_add_co_ci_u32_e32 v10, vcc_lo, 0, v10, vcc_lo
	s_or_b32 vcc_lo, s2, s1
	v_add_co_ci_u32_e32 v8, vcc_lo, 0, v8, vcc_lo
	v_cmp_gt_i32_e32 vcc_lo, 31, v9
	v_cndmask_b32_e32 v10, 0x7c00, v10, vcc_lo
	v_cmp_gt_i32_e32 vcc_lo, 31, v11
	v_cndmask_b32_e32 v8, 0x7c00, v8, vcc_lo
	v_cmp_eq_u32_e32 vcc_lo, 0x40f, v9
	v_cndmask_b32_e32 v4, v10, v4, vcc_lo
	v_cmp_eq_u32_e32 vcc_lo, 0x40f, v11
	v_and_or_b32 v4, 0x8000, v5, v4
	v_cndmask_b32_e32 v6, v8, v6, vcc_lo
	v_add_co_u32 v2, vcc_lo, v2, s6
	v_add_co_ci_u32_e32 v3, vcc_lo, s3, v3, vcc_lo
	v_and_or_b32 v5, 0x8000, v7, v6
	v_and_b32_e32 v4, 0xffff, v4
	v_lshl_or_b32 v4, v5, 16, v4
	global_store_dword v[2:3], v4, off
	global_load_dword v6, v24, s[12:13] offset:420
	ds_read2_b32 v[4:5], v21 offset0:105 offset1:112
	s_waitcnt lgkmcnt(0)
	v_lshrrev_b32_e32 v7, 16, v4
	s_waitcnt vmcnt(0)
	v_mul_f16_sdwa v8, v7, v6 dst_sel:DWORD dst_unused:UNUSED_PAD src0_sel:DWORD src1_sel:WORD_1
	v_mul_f16_sdwa v9, v4, v6 dst_sel:DWORD dst_unused:UNUSED_PAD src0_sel:DWORD src1_sel:WORD_1
	v_fmac_f16_e32 v8, v4, v6
	v_fma_f16 v4, v6, v7, -v9
	v_cvt_f32_f16_e32 v6, v8
	v_cvt_f32_f16_e32 v4, v4
	v_cvt_f64_f32_e32 v[6:7], v6
	v_cvt_f64_f32_e32 v[8:9], v4
	v_mul_f64 v[6:7], v[6:7], s[8:9]
	v_mul_f64 v[8:9], v[8:9], s[8:9]
	v_and_or_b32 v4, 0x1ff, v7, v6
	v_and_or_b32 v8, 0x1ff, v9, v8
	v_lshrrev_b32_e32 v6, 8, v7
	v_bfe_u32 v10, v7, 20, 11
	v_lshrrev_b32_e32 v11, 8, v9
	v_cmp_ne_u32_e32 vcc_lo, 0, v4
	v_bfe_u32 v12, v9, 20, 11
	v_lshrrev_b32_e32 v7, 16, v7
	v_sub_nc_u32_e32 v13, 0x3f1, v10
	v_add_nc_u32_e32 v10, 0xfffffc10, v10
	v_cndmask_b32_e64 v4, 0, 1, vcc_lo
	v_cmp_ne_u32_e32 vcc_lo, 0, v8
	v_lshrrev_b32_e32 v9, 16, v9
	v_and_or_b32 v4, 0xffe, v6, v4
	v_cndmask_b32_e64 v8, 0, 1, vcc_lo
	v_sub_nc_u32_e32 v6, 0x3f1, v12
	v_add_nc_u32_e32 v12, 0xfffffc10, v12
	v_and_or_b32 v8, 0xffe, v11, v8
	v_med3_i32 v11, v13, 0, 13
	v_or_b32_e32 v13, 0x1000, v4
	v_med3_i32 v6, v6, 0, 13
	v_or_b32_e32 v14, 0x1000, v8
	v_lshrrev_b32_e32 v15, v11, v13
	v_lshrrev_b32_e32 v16, v6, v14
	v_lshlrev_b32_e32 v11, v11, v15
	v_lshlrev_b32_e32 v6, v6, v16
	v_cmp_ne_u32_e32 vcc_lo, v11, v13
	v_lshl_or_b32 v13, v10, 12, v4
	v_cndmask_b32_e64 v11, 0, 1, vcc_lo
	v_cmp_ne_u32_e32 vcc_lo, v6, v14
	v_lshl_or_b32 v14, v12, 12, v8
	v_or_b32_e32 v11, v15, v11
	v_cndmask_b32_e64 v6, 0, 1, vcc_lo
	v_cmp_gt_i32_e32 vcc_lo, 1, v10
	v_or_b32_e32 v6, v16, v6
	v_cndmask_b32_e32 v11, v13, v11, vcc_lo
	v_cmp_gt_i32_e32 vcc_lo, 1, v12
	v_and_b32_e32 v13, 7, v11
	v_cndmask_b32_e32 v6, v14, v6, vcc_lo
	v_cmp_ne_u32_e32 vcc_lo, 0, v4
	v_lshrrev_b32_e32 v11, 2, v11
	v_cmp_eq_u32_e64 s0, 3, v13
	v_and_b32_e32 v14, 7, v6
	v_cndmask_b32_e64 v4, 0, 1, vcc_lo
	v_cmp_ne_u32_e32 vcc_lo, 0, v8
	v_lshrrev_b32_e32 v6, 2, v6
	v_cmp_lt_i32_e64 s1, 5, v14
	v_cmp_eq_u32_e64 s2, 3, v14
	v_cndmask_b32_e64 v8, 0, 1, vcc_lo
	v_cmp_lt_i32_e32 vcc_lo, 5, v13
	v_lshl_or_b32 v4, v4, 9, 0x7c00
	v_lshl_or_b32 v8, v8, 9, 0x7c00
	s_or_b32 vcc_lo, s0, vcc_lo
	v_add_co_ci_u32_e32 v11, vcc_lo, 0, v11, vcc_lo
	s_or_b32 vcc_lo, s2, s1
	v_add_co_ci_u32_e32 v6, vcc_lo, 0, v6, vcc_lo
	v_cmp_gt_i32_e32 vcc_lo, 31, v10
	v_cndmask_b32_e32 v11, 0x7c00, v11, vcc_lo
	v_cmp_gt_i32_e32 vcc_lo, 31, v12
	v_cndmask_b32_e32 v6, 0x7c00, v6, vcc_lo
	v_cmp_eq_u32_e32 vcc_lo, 0x40f, v10
	v_cndmask_b32_e32 v4, v11, v4, vcc_lo
	v_cmp_eq_u32_e32 vcc_lo, 0x40f, v12
	v_and_or_b32 v4, 0x8000, v7, v4
	v_cndmask_b32_e32 v6, v6, v8, vcc_lo
	v_add_co_u32 v2, vcc_lo, v2, s6
	v_add_co_ci_u32_e32 v3, vcc_lo, s3, v3, vcc_lo
	v_and_or_b32 v6, 0x8000, v9, v6
	v_and_b32_e32 v4, 0xffff, v4
	v_lshl_or_b32 v4, v6, 16, v4
	global_store_dword v[2:3], v4, off
	global_load_dword v2, v24, s[12:13] offset:448
	v_lshrrev_b32_e32 v3, 16, v5
	s_waitcnt vmcnt(0)
	v_mul_f16_sdwa v4, v3, v2 dst_sel:DWORD dst_unused:UNUSED_PAD src0_sel:DWORD src1_sel:WORD_1
	v_mul_f16_sdwa v6, v5, v2 dst_sel:DWORD dst_unused:UNUSED_PAD src0_sel:DWORD src1_sel:WORD_1
	v_fmac_f16_e32 v4, v5, v2
	v_fma_f16 v2, v2, v3, -v6
	v_cvt_f32_f16_e32 v3, v4
	v_cvt_f32_f16_e32 v4, v2
	v_cvt_f64_f32_e32 v[2:3], v3
	v_cvt_f64_f32_e32 v[4:5], v4
	v_mul_f64 v[2:3], v[2:3], s[8:9]
	v_mul_f64 v[4:5], v[4:5], s[8:9]
	v_and_or_b32 v2, 0x1ff, v3, v2
	v_and_or_b32 v4, 0x1ff, v5, v4
	v_lshrrev_b32_e32 v6, 8, v3
	v_bfe_u32 v8, v3, 20, 11
	v_bfe_u32 v9, v5, 20, 11
	v_cmp_ne_u32_e32 vcc_lo, 0, v2
	v_lshrrev_b32_e32 v7, 8, v5
	v_lshrrev_b32_e32 v5, 16, v5
	v_sub_nc_u32_e32 v10, 0x3f1, v8
	v_sub_nc_u32_e32 v11, 0x3f1, v9
	v_cndmask_b32_e64 v2, 0, 1, vcc_lo
	v_cmp_ne_u32_e32 vcc_lo, 0, v4
	v_add_nc_u32_e32 v9, 0xfffffc10, v9
	v_and_or_b32 v12, 0xffe, v6, v2
	v_cndmask_b32_e64 v4, 0, 1, vcc_lo
	v_med3_i32 v2, v10, 0, 13
	v_med3_i32 v10, v11, 0, 13
	v_or_b32_e32 v11, 0x1000, v12
	v_and_or_b32 v4, 0xffe, v7, v4
	v_mad_u64_u32 v[6:7], null, s4, v23, 0
	v_lshrrev_b32_e32 v14, v2, v11
	v_or_b32_e32 v13, 0x1000, v4
	v_lshlrev_b32_e32 v16, v2, v14
	v_lshrrev_b32_e32 v15, v10, v13
	v_mov_b32_e32 v2, v7
	v_cmp_ne_u32_e32 vcc_lo, v16, v11
	v_lshlrev_b32_e32 v7, v10, v15
	v_add_nc_u32_e32 v10, 0xfffffc10, v8
	v_cndmask_b32_e64 v11, 0, 1, vcc_lo
	v_cmp_ne_u32_e32 vcc_lo, v7, v13
	v_mad_u64_u32 v[7:8], null, s5, v23, v[2:3]
	v_lshl_or_b32 v2, v10, 12, v12
	v_or_b32_e32 v8, v14, v11
	v_cndmask_b32_e64 v13, 0, 1, vcc_lo
	v_cmp_gt_i32_e32 vcc_lo, 1, v10
	v_lshl_or_b32 v11, v9, 12, v4
	v_lshrrev_b32_e32 v3, 16, v3
	v_or_b32_e32 v13, v15, v13
	v_cndmask_b32_e32 v2, v2, v8, vcc_lo
	v_cmp_gt_i32_e32 vcc_lo, 1, v9
	v_cndmask_b32_e32 v8, v11, v13, vcc_lo
	v_cmp_ne_u32_e32 vcc_lo, 0, v12
	v_and_b32_e32 v12, 7, v2
	v_lshrrev_b32_e32 v2, 2, v2
	v_and_b32_e32 v13, 7, v8
	v_cndmask_b32_e64 v11, 0, 1, vcc_lo
	v_cmp_ne_u32_e32 vcc_lo, 0, v4
	v_cmp_eq_u32_e64 s0, 3, v12
	v_lshrrev_b32_e32 v8, 2, v8
	v_cmp_lt_i32_e64 s1, 5, v13
	v_cmp_eq_u32_e64 s2, 3, v13
	v_cndmask_b32_e64 v4, 0, 1, vcc_lo
	v_cmp_lt_i32_e32 vcc_lo, 5, v12
	v_lshl_or_b32 v11, v11, 9, 0x7c00
	v_lshl_or_b32 v4, v4, 9, 0x7c00
	s_or_b32 vcc_lo, s0, vcc_lo
	v_add_co_ci_u32_e32 v2, vcc_lo, 0, v2, vcc_lo
	s_or_b32 vcc_lo, s2, s1
	v_add_co_ci_u32_e32 v8, vcc_lo, 0, v8, vcc_lo
	v_cmp_gt_i32_e32 vcc_lo, 31, v10
	v_cndmask_b32_e32 v2, 0x7c00, v2, vcc_lo
	v_cmp_gt_i32_e32 vcc_lo, 31, v9
	v_cndmask_b32_e32 v8, 0x7c00, v8, vcc_lo
	v_cmp_eq_u32_e32 vcc_lo, 0x40f, v10
	v_cndmask_b32_e32 v2, v2, v11, vcc_lo
	v_cmp_eq_u32_e32 vcc_lo, 0x40f, v9
	v_and_or_b32 v2, 0x8000, v3, v2
	v_cndmask_b32_e32 v4, v8, v4, vcc_lo
	v_and_or_b32 v4, 0x8000, v5, v4
	v_and_b32_e32 v5, 0xffff, v2
	v_lshlrev_b64 v[2:3], 2, v[6:7]
	v_lshl_or_b32 v4, v4, 16, v5
	v_add_co_u32 v0, vcc_lo, v0, v2
	v_add_co_ci_u32_e32 v1, vcc_lo, v1, v3, vcc_lo
	global_store_dword v[0:1], v4, off
.LBB0_15:
	s_endpgm
	.section	.rodata,"a",@progbits
	.p2align	6, 0x0
	.amdhsa_kernel bluestein_single_fwd_len119_dim1_half_op_CI_CI
		.amdhsa_group_segment_fixed_size 7140
		.amdhsa_private_segment_fixed_size 0
		.amdhsa_kernarg_size 104
		.amdhsa_user_sgpr_count 6
		.amdhsa_user_sgpr_private_segment_buffer 1
		.amdhsa_user_sgpr_dispatch_ptr 0
		.amdhsa_user_sgpr_queue_ptr 0
		.amdhsa_user_sgpr_kernarg_segment_ptr 1
		.amdhsa_user_sgpr_dispatch_id 0
		.amdhsa_user_sgpr_flat_scratch_init 0
		.amdhsa_user_sgpr_private_segment_size 0
		.amdhsa_wavefront_size32 1
		.amdhsa_uses_dynamic_stack 0
		.amdhsa_system_sgpr_private_segment_wavefront_offset 0
		.amdhsa_system_sgpr_workgroup_id_x 1
		.amdhsa_system_sgpr_workgroup_id_y 0
		.amdhsa_system_sgpr_workgroup_id_z 0
		.amdhsa_system_sgpr_workgroup_info 0
		.amdhsa_system_vgpr_workitem_id 0
		.amdhsa_next_free_vgpr 209
		.amdhsa_next_free_sgpr 16
		.amdhsa_reserve_vcc 1
		.amdhsa_reserve_flat_scratch 0
		.amdhsa_float_round_mode_32 0
		.amdhsa_float_round_mode_16_64 0
		.amdhsa_float_denorm_mode_32 3
		.amdhsa_float_denorm_mode_16_64 3
		.amdhsa_dx10_clamp 1
		.amdhsa_ieee_mode 1
		.amdhsa_fp16_overflow 0
		.amdhsa_workgroup_processor_mode 1
		.amdhsa_memory_ordered 1
		.amdhsa_forward_progress 0
		.amdhsa_shared_vgpr_count 0
		.amdhsa_exception_fp_ieee_invalid_op 0
		.amdhsa_exception_fp_denorm_src 0
		.amdhsa_exception_fp_ieee_div_zero 0
		.amdhsa_exception_fp_ieee_overflow 0
		.amdhsa_exception_fp_ieee_underflow 0
		.amdhsa_exception_fp_ieee_inexact 0
		.amdhsa_exception_int_div_zero 0
	.end_amdhsa_kernel
	.text
.Lfunc_end0:
	.size	bluestein_single_fwd_len119_dim1_half_op_CI_CI, .Lfunc_end0-bluestein_single_fwd_len119_dim1_half_op_CI_CI
                                        ; -- End function
	.section	.AMDGPU.csdata,"",@progbits
; Kernel info:
; codeLenInByte = 24852
; NumSgprs: 18
; NumVgprs: 209
; ScratchSize: 0
; MemoryBound: 0
; FloatMode: 240
; IeeeMode: 1
; LDSByteSize: 7140 bytes/workgroup (compile time only)
; SGPRBlocks: 2
; VGPRBlocks: 26
; NumSGPRsForWavesPerEU: 18
; NumVGPRsForWavesPerEU: 209
; Occupancy: 4
; WaveLimiterHint : 1
; COMPUTE_PGM_RSRC2:SCRATCH_EN: 0
; COMPUTE_PGM_RSRC2:USER_SGPR: 6
; COMPUTE_PGM_RSRC2:TRAP_HANDLER: 0
; COMPUTE_PGM_RSRC2:TGID_X_EN: 1
; COMPUTE_PGM_RSRC2:TGID_Y_EN: 0
; COMPUTE_PGM_RSRC2:TGID_Z_EN: 0
; COMPUTE_PGM_RSRC2:TIDIG_COMP_CNT: 0
	.text
	.p2alignl 6, 3214868480
	.fill 48, 4, 3214868480
	.type	__hip_cuid_ca45713a7b776ef2,@object ; @__hip_cuid_ca45713a7b776ef2
	.section	.bss,"aw",@nobits
	.globl	__hip_cuid_ca45713a7b776ef2
__hip_cuid_ca45713a7b776ef2:
	.byte	0                               ; 0x0
	.size	__hip_cuid_ca45713a7b776ef2, 1

	.ident	"AMD clang version 19.0.0git (https://github.com/RadeonOpenCompute/llvm-project roc-6.4.0 25133 c7fe45cf4b819c5991fe208aaa96edf142730f1d)"
	.section	".note.GNU-stack","",@progbits
	.addrsig
	.addrsig_sym __hip_cuid_ca45713a7b776ef2
	.amdgpu_metadata
---
amdhsa.kernels:
  - .args:
      - .actual_access:  read_only
        .address_space:  global
        .offset:         0
        .size:           8
        .value_kind:     global_buffer
      - .actual_access:  read_only
        .address_space:  global
        .offset:         8
        .size:           8
        .value_kind:     global_buffer
      - .actual_access:  read_only
        .address_space:  global
        .offset:         16
        .size:           8
        .value_kind:     global_buffer
      - .actual_access:  read_only
        .address_space:  global
        .offset:         24
        .size:           8
        .value_kind:     global_buffer
      - .actual_access:  read_only
        .address_space:  global
        .offset:         32
        .size:           8
        .value_kind:     global_buffer
      - .offset:         40
        .size:           8
        .value_kind:     by_value
      - .address_space:  global
        .offset:         48
        .size:           8
        .value_kind:     global_buffer
      - .address_space:  global
        .offset:         56
        .size:           8
        .value_kind:     global_buffer
      - .address_space:  global
        .offset:         64
        .size:           8
        .value_kind:     global_buffer
      - .address_space:  global
        .offset:         72
        .size:           8
        .value_kind:     global_buffer
      - .offset:         80
        .size:           4
        .value_kind:     by_value
      - .address_space:  global
        .offset:         88
        .size:           8
        .value_kind:     global_buffer
      - .address_space:  global
        .offset:         96
        .size:           8
        .value_kind:     global_buffer
    .group_segment_fixed_size: 7140
    .kernarg_segment_align: 8
    .kernarg_segment_size: 104
    .language:       OpenCL C
    .language_version:
      - 2
      - 0
    .max_flat_workgroup_size: 255
    .name:           bluestein_single_fwd_len119_dim1_half_op_CI_CI
    .private_segment_fixed_size: 0
    .sgpr_count:     18
    .sgpr_spill_count: 0
    .symbol:         bluestein_single_fwd_len119_dim1_half_op_CI_CI.kd
    .uniform_work_group_size: 1
    .uses_dynamic_stack: false
    .vgpr_count:     209
    .vgpr_spill_count: 0
    .wavefront_size: 32
    .workgroup_processor_mode: 1
amdhsa.target:   amdgcn-amd-amdhsa--gfx1030
amdhsa.version:
  - 1
  - 2
...

	.end_amdgpu_metadata
